;; amdgpu-corpus repo=ROCm/rocFFT kind=compiled arch=gfx906 opt=O3
	.text
	.amdgcn_target "amdgcn-amd-amdhsa--gfx906"
	.amdhsa_code_object_version 6
	.protected	fft_rtc_fwd_len1445_factors_17_5_17_wgs_85_tpt_85_halfLds_sp_ip_CI_sbrr_dirReg ; -- Begin function fft_rtc_fwd_len1445_factors_17_5_17_wgs_85_tpt_85_halfLds_sp_ip_CI_sbrr_dirReg
	.globl	fft_rtc_fwd_len1445_factors_17_5_17_wgs_85_tpt_85_halfLds_sp_ip_CI_sbrr_dirReg
	.p2align	8
	.type	fft_rtc_fwd_len1445_factors_17_5_17_wgs_85_tpt_85_halfLds_sp_ip_CI_sbrr_dirReg,@function
fft_rtc_fwd_len1445_factors_17_5_17_wgs_85_tpt_85_halfLds_sp_ip_CI_sbrr_dirReg: ; @fft_rtc_fwd_len1445_factors_17_5_17_wgs_85_tpt_85_halfLds_sp_ip_CI_sbrr_dirReg
; %bb.0:
	s_load_dwordx2 s[14:15], s[4:5], 0x18
	s_load_dwordx4 s[8:11], s[4:5], 0x0
	s_load_dwordx2 s[12:13], s[4:5], 0x50
	v_mul_u32_u24_e32 v1, 0x304, v0
	v_add_u32_sdwa v5, s6, v1 dst_sel:DWORD dst_unused:UNUSED_PAD src0_sel:DWORD src1_sel:WORD_1
	s_waitcnt lgkmcnt(0)
	s_load_dwordx2 s[2:3], s[14:15], 0x0
	v_cmp_lt_u64_e64 s[0:1], s[10:11], 2
	v_mov_b32_e32 v3, 0
	v_mov_b32_e32 v1, 0
	;; [unrolled: 1-line block ×3, first 2 shown]
	s_and_b64 vcc, exec, s[0:1]
	v_mov_b32_e32 v2, 0
	s_cbranch_vccnz .LBB0_8
; %bb.1:
	s_load_dwordx2 s[0:1], s[4:5], 0x10
	s_add_u32 s6, s14, 8
	s_addc_u32 s7, s15, 0
	v_mov_b32_e32 v1, 0
	v_mov_b32_e32 v2, 0
	s_waitcnt lgkmcnt(0)
	s_add_u32 s16, s0, 8
	s_addc_u32 s17, s1, 0
	s_mov_b64 s[18:19], 1
.LBB0_2:                                ; =>This Inner Loop Header: Depth=1
	s_load_dwordx2 s[20:21], s[16:17], 0x0
                                        ; implicit-def: $vgpr7_vgpr8
	s_waitcnt lgkmcnt(0)
	v_or_b32_e32 v4, s21, v6
	v_cmp_ne_u64_e32 vcc, 0, v[3:4]
	s_and_saveexec_b64 s[0:1], vcc
	s_xor_b64 s[22:23], exec, s[0:1]
	s_cbranch_execz .LBB0_4
; %bb.3:                                ;   in Loop: Header=BB0_2 Depth=1
	v_cvt_f32_u32_e32 v4, s20
	v_cvt_f32_u32_e32 v7, s21
	s_sub_u32 s0, 0, s20
	s_subb_u32 s1, 0, s21
	v_mac_f32_e32 v4, 0x4f800000, v7
	v_rcp_f32_e32 v4, v4
	v_mul_f32_e32 v4, 0x5f7ffffc, v4
	v_mul_f32_e32 v7, 0x2f800000, v4
	v_trunc_f32_e32 v7, v7
	v_mac_f32_e32 v4, 0xcf800000, v7
	v_cvt_u32_f32_e32 v7, v7
	v_cvt_u32_f32_e32 v4, v4
	v_mul_lo_u32 v8, s0, v7
	v_mul_hi_u32 v9, s0, v4
	v_mul_lo_u32 v11, s1, v4
	v_mul_lo_u32 v10, s0, v4
	v_add_u32_e32 v8, v9, v8
	v_add_u32_e32 v8, v8, v11
	v_mul_hi_u32 v9, v4, v10
	v_mul_lo_u32 v11, v4, v8
	v_mul_hi_u32 v13, v4, v8
	v_mul_hi_u32 v12, v7, v10
	v_mul_lo_u32 v10, v7, v10
	v_mul_hi_u32 v14, v7, v8
	v_add_co_u32_e32 v9, vcc, v9, v11
	v_addc_co_u32_e32 v11, vcc, 0, v13, vcc
	v_mul_lo_u32 v8, v7, v8
	v_add_co_u32_e32 v9, vcc, v9, v10
	v_addc_co_u32_e32 v9, vcc, v11, v12, vcc
	v_addc_co_u32_e32 v10, vcc, 0, v14, vcc
	v_add_co_u32_e32 v8, vcc, v9, v8
	v_addc_co_u32_e32 v9, vcc, 0, v10, vcc
	v_add_co_u32_e32 v4, vcc, v4, v8
	v_addc_co_u32_e32 v7, vcc, v7, v9, vcc
	v_mul_lo_u32 v8, s0, v7
	v_mul_hi_u32 v9, s0, v4
	v_mul_lo_u32 v10, s1, v4
	v_mul_lo_u32 v11, s0, v4
	v_add_u32_e32 v8, v9, v8
	v_add_u32_e32 v8, v8, v10
	v_mul_lo_u32 v12, v4, v8
	v_mul_hi_u32 v13, v4, v11
	v_mul_hi_u32 v14, v4, v8
	;; [unrolled: 1-line block ×3, first 2 shown]
	v_mul_lo_u32 v11, v7, v11
	v_mul_hi_u32 v9, v7, v8
	v_add_co_u32_e32 v12, vcc, v13, v12
	v_addc_co_u32_e32 v13, vcc, 0, v14, vcc
	v_mul_lo_u32 v8, v7, v8
	v_add_co_u32_e32 v11, vcc, v12, v11
	v_addc_co_u32_e32 v10, vcc, v13, v10, vcc
	v_addc_co_u32_e32 v9, vcc, 0, v9, vcc
	v_add_co_u32_e32 v8, vcc, v10, v8
	v_addc_co_u32_e32 v9, vcc, 0, v9, vcc
	v_add_co_u32_e32 v4, vcc, v4, v8
	v_addc_co_u32_e32 v9, vcc, v7, v9, vcc
	v_mad_u64_u32 v[7:8], s[0:1], v5, v9, 0
	v_mul_hi_u32 v10, v5, v4
	v_add_co_u32_e32 v11, vcc, v10, v7
	v_addc_co_u32_e32 v12, vcc, 0, v8, vcc
	v_mad_u64_u32 v[7:8], s[0:1], v6, v4, 0
	v_mad_u64_u32 v[9:10], s[0:1], v6, v9, 0
	v_add_co_u32_e32 v4, vcc, v11, v7
	v_addc_co_u32_e32 v4, vcc, v12, v8, vcc
	v_addc_co_u32_e32 v7, vcc, 0, v10, vcc
	v_add_co_u32_e32 v4, vcc, v4, v9
	v_addc_co_u32_e32 v9, vcc, 0, v7, vcc
	v_mul_lo_u32 v10, s21, v4
	v_mul_lo_u32 v11, s20, v9
	v_mad_u64_u32 v[7:8], s[0:1], s20, v4, 0
	v_add3_u32 v8, v8, v11, v10
	v_sub_u32_e32 v10, v6, v8
	v_mov_b32_e32 v11, s21
	v_sub_co_u32_e32 v7, vcc, v5, v7
	v_subb_co_u32_e64 v10, s[0:1], v10, v11, vcc
	v_subrev_co_u32_e64 v11, s[0:1], s20, v7
	v_subbrev_co_u32_e64 v10, s[0:1], 0, v10, s[0:1]
	v_cmp_le_u32_e64 s[0:1], s21, v10
	v_cndmask_b32_e64 v12, 0, -1, s[0:1]
	v_cmp_le_u32_e64 s[0:1], s20, v11
	v_cndmask_b32_e64 v11, 0, -1, s[0:1]
	v_cmp_eq_u32_e64 s[0:1], s21, v10
	v_cndmask_b32_e64 v10, v12, v11, s[0:1]
	v_add_co_u32_e64 v11, s[0:1], 2, v4
	v_addc_co_u32_e64 v12, s[0:1], 0, v9, s[0:1]
	v_add_co_u32_e64 v13, s[0:1], 1, v4
	v_addc_co_u32_e64 v14, s[0:1], 0, v9, s[0:1]
	v_subb_co_u32_e32 v8, vcc, v6, v8, vcc
	v_cmp_ne_u32_e64 s[0:1], 0, v10
	v_cmp_le_u32_e32 vcc, s21, v8
	v_cndmask_b32_e64 v10, v14, v12, s[0:1]
	v_cndmask_b32_e64 v12, 0, -1, vcc
	v_cmp_le_u32_e32 vcc, s20, v7
	v_cndmask_b32_e64 v7, 0, -1, vcc
	v_cmp_eq_u32_e32 vcc, s21, v8
	v_cndmask_b32_e32 v7, v12, v7, vcc
	v_cmp_ne_u32_e32 vcc, 0, v7
	v_cndmask_b32_e64 v7, v13, v11, s[0:1]
	v_cndmask_b32_e32 v8, v9, v10, vcc
	v_cndmask_b32_e32 v7, v4, v7, vcc
.LBB0_4:                                ;   in Loop: Header=BB0_2 Depth=1
	s_andn2_saveexec_b64 s[0:1], s[22:23]
	s_cbranch_execz .LBB0_6
; %bb.5:                                ;   in Loop: Header=BB0_2 Depth=1
	v_cvt_f32_u32_e32 v4, s20
	s_sub_i32 s22, 0, s20
	v_rcp_iflag_f32_e32 v4, v4
	v_mul_f32_e32 v4, 0x4f7ffffe, v4
	v_cvt_u32_f32_e32 v4, v4
	v_mul_lo_u32 v7, s22, v4
	v_mul_hi_u32 v7, v4, v7
	v_add_u32_e32 v4, v4, v7
	v_mul_hi_u32 v4, v5, v4
	v_mul_lo_u32 v7, v4, s20
	v_add_u32_e32 v8, 1, v4
	v_sub_u32_e32 v7, v5, v7
	v_subrev_u32_e32 v9, s20, v7
	v_cmp_le_u32_e32 vcc, s20, v7
	v_cndmask_b32_e32 v7, v7, v9, vcc
	v_cndmask_b32_e32 v4, v4, v8, vcc
	v_add_u32_e32 v8, 1, v4
	v_cmp_le_u32_e32 vcc, s20, v7
	v_cndmask_b32_e32 v7, v4, v8, vcc
	v_mov_b32_e32 v8, v3
.LBB0_6:                                ;   in Loop: Header=BB0_2 Depth=1
	s_or_b64 exec, exec, s[0:1]
	v_mul_lo_u32 v4, v8, s20
	v_mul_lo_u32 v11, v7, s21
	v_mad_u64_u32 v[9:10], s[0:1], v7, s20, 0
	s_load_dwordx2 s[0:1], s[6:7], 0x0
	s_add_u32 s18, s18, 1
	v_add3_u32 v4, v10, v11, v4
	v_sub_co_u32_e32 v5, vcc, v5, v9
	v_subb_co_u32_e32 v4, vcc, v6, v4, vcc
	s_waitcnt lgkmcnt(0)
	v_mul_lo_u32 v4, s0, v4
	v_mul_lo_u32 v6, s1, v5
	v_mad_u64_u32 v[1:2], s[0:1], s0, v5, v[1:2]
	s_addc_u32 s19, s19, 0
	s_add_u32 s6, s6, 8
	v_add3_u32 v2, v6, v2, v4
	v_mov_b32_e32 v4, s10
	v_mov_b32_e32 v5, s11
	s_addc_u32 s7, s7, 0
	v_cmp_ge_u64_e32 vcc, s[18:19], v[4:5]
	s_add_u32 s16, s16, 8
	s_addc_u32 s17, s17, 0
	s_cbranch_vccnz .LBB0_9
; %bb.7:                                ;   in Loop: Header=BB0_2 Depth=1
	v_mov_b32_e32 v5, v7
	v_mov_b32_e32 v6, v8
	s_branch .LBB0_2
.LBB0_8:
	v_mov_b32_e32 v8, v6
	v_mov_b32_e32 v7, v5
.LBB0_9:
	s_lshl_b64 s[0:1], s[10:11], 3
	s_add_u32 s0, s14, s0
	s_addc_u32 s1, s15, s1
	s_load_dwordx2 s[6:7], s[0:1], 0x0
	s_load_dwordx2 s[10:11], s[4:5], 0x20
                                        ; implicit-def: $vgpr52
                                        ; implicit-def: $vgpr51
                                        ; implicit-def: $vgpr50
	s_waitcnt lgkmcnt(0)
	v_mad_u64_u32 v[1:2], s[0:1], s6, v7, v[1:2]
	s_mov_b32 s0, 0x3030304
	v_mul_lo_u32 v3, s6, v8
	v_mul_lo_u32 v4, s7, v7
	v_mul_hi_u32 v5, v0, s0
	v_cmp_gt_u64_e32 vcc, s[10:11], v[7:8]
	v_cmp_le_u64_e64 s[0:1], s[10:11], v[7:8]
	v_add3_u32 v2, v4, v2, v3
	v_mul_u32_u24_e32 v3, 0x55, v5
	v_sub_u32_e32 v49, v0, v3
                                        ; implicit-def: $sgpr6_sgpr7
                                        ; implicit-def: $sgpr10
	s_and_saveexec_b64 s[4:5], s[0:1]
	s_xor_b64 s[0:1], exec, s[4:5]
; %bb.10:
	v_add_u32_e32 v52, 0x55, v49
	v_add_u32_e32 v51, 0xaa, v49
	;; [unrolled: 1-line block ×3, first 2 shown]
	s_mov_b32 s10, 0
	s_mov_b64 s[6:7], 0
; %bb.11:
	s_or_saveexec_b64 s[4:5], s[0:1]
	v_lshlrev_b64 v[0:1], 3, v[1:2]
	v_mov_b32_e32 v27, s7
	v_mov_b32_e32 v48, s10
	;; [unrolled: 1-line block ×3, first 2 shown]
                                        ; implicit-def: $vgpr33
                                        ; implicit-def: $vgpr29
                                        ; implicit-def: $vgpr23
                                        ; implicit-def: $vgpr19
                                        ; implicit-def: $vgpr15
                                        ; implicit-def: $vgpr11
                                        ; implicit-def: $vgpr7
                                        ; implicit-def: $vgpr3
                                        ; implicit-def: $vgpr35
                                        ; implicit-def: $vgpr31
                                        ; implicit-def: $vgpr25
                                        ; implicit-def: $vgpr21
                                        ; implicit-def: $vgpr17
                                        ; implicit-def: $vgpr13
                                        ; implicit-def: $vgpr9
                                        ; implicit-def: $vgpr5
	s_xor_b64 exec, exec, s[4:5]
	s_cbranch_execz .LBB0_13
; %bb.12:
	v_mad_u64_u32 v[2:3], s[0:1], s2, v49, 0
	v_add_u32_e32 v52, 0x55, v49
	v_mov_b32_e32 v6, s13
	v_mad_u64_u32 v[3:4], s[0:1], s3, v49, v[3:4]
	v_mad_u64_u32 v[4:5], s[0:1], s2, v52, 0
	v_add_co_u32_e64 v10, s[0:1], s12, v0
	v_addc_co_u32_e64 v11, s[0:1], v6, v1, s[0:1]
	v_mad_u64_u32 v[5:6], s[0:1], s3, v52, v[5:6]
	v_add_u32_e32 v51, 0xaa, v49
	v_mad_u64_u32 v[6:7], s[0:1], s2, v51, 0
	v_lshlrev_b64 v[2:3], 3, v[2:3]
	v_add_u32_e32 v50, 0xff, v49
	v_add_co_u32_e64 v30, s[0:1], v10, v2
	v_addc_co_u32_e64 v31, s[0:1], v11, v3, s[0:1]
	v_lshlrev_b64 v[2:3], 3, v[4:5]
	v_mov_b32_e32 v4, v7
	v_mad_u64_u32 v[4:5], s[0:1], s3, v51, v[4:5]
	v_mad_u64_u32 v[8:9], s[0:1], s2, v50, 0
	v_add_co_u32_e64 v34, s[0:1], v10, v2
	v_mov_b32_e32 v7, v4
	v_mov_b32_e32 v4, v9
	v_addc_co_u32_e64 v35, s[0:1], v11, v3, s[0:1]
	v_lshlrev_b64 v[2:3], 3, v[6:7]
	v_mad_u64_u32 v[4:5], s[0:1], s3, v50, v[4:5]
	v_add_u32_e32 v7, 0x154, v49
	v_mad_u64_u32 v[5:6], s[0:1], s2, v7, 0
	v_add_co_u32_e64 v36, s[0:1], v10, v2
	v_mov_b32_e32 v9, v4
	v_mov_b32_e32 v4, v6
	v_addc_co_u32_e64 v37, s[0:1], v11, v3, s[0:1]
	v_lshlrev_b64 v[2:3], 3, v[8:9]
	v_mad_u64_u32 v[6:7], s[0:1], s3, v7, v[4:5]
	v_add_u32_e32 v9, 0x1a9, v49
	v_mad_u64_u32 v[7:8], s[0:1], s2, v9, 0
	v_add_co_u32_e64 v38, s[0:1], v10, v2
	v_mov_b32_e32 v4, v8
	v_addc_co_u32_e64 v39, s[0:1], v11, v3, s[0:1]
	v_lshlrev_b64 v[2:3], 3, v[5:6]
	v_mad_u64_u32 v[4:5], s[0:1], s3, v9, v[4:5]
	v_add_u32_e32 v9, 0x1fe, v49
	v_mad_u64_u32 v[5:6], s[0:1], s2, v9, 0
	v_add_co_u32_e64 v40, s[0:1], v10, v2
	v_mov_b32_e32 v8, v4
	v_mov_b32_e32 v4, v6
	v_addc_co_u32_e64 v41, s[0:1], v11, v3, s[0:1]
	v_lshlrev_b64 v[2:3], 3, v[7:8]
	v_mad_u64_u32 v[6:7], s[0:1], s3, v9, v[4:5]
	v_add_u32_e32 v9, 0x253, v49
	v_mad_u64_u32 v[7:8], s[0:1], s2, v9, 0
	v_add_co_u32_e64 v42, s[0:1], v10, v2
	;; [unrolled: 15-line block ×6, first 2 shown]
	v_mov_b32_e32 v4, v8
	v_addc_co_u32_e64 v64, s[0:1], v11, v3, s[0:1]
	v_lshlrev_b64 v[2:3], 3, v[5:6]
	v_mad_u64_u32 v[4:5], s[0:1], s3, v9, v[4:5]
	v_add_u32_e32 v9, 0x550, v49
	v_mad_u64_u32 v[5:6], s[0:1], s2, v9, 0
	v_add_co_u32_e64 v65, s[0:1], v10, v2
	v_mov_b32_e32 v8, v4
	v_mov_b32_e32 v4, v6
	v_addc_co_u32_e64 v66, s[0:1], v11, v3, s[0:1]
	v_lshlrev_b64 v[2:3], 3, v[7:8]
	v_mad_u64_u32 v[6:7], s[0:1], s3, v9, v[4:5]
	v_add_co_u32_e64 v67, s[0:1], v10, v2
	v_addc_co_u32_e64 v68, s[0:1], v11, v3, s[0:1]
	v_lshlrev_b64 v[2:3], 3, v[5:6]
	v_mov_b32_e32 v48, v49
	v_add_co_u32_e64 v69, s[0:1], v10, v2
	v_addc_co_u32_e64 v70, s[0:1], v11, v3, s[0:1]
	global_load_dwordx2 v[26:27], v[30:31], off
	global_load_dwordx2 v[32:33], v[34:35], off
	;; [unrolled: 1-line block ×15, first 2 shown]
                                        ; kill: killed $vgpr30 killed $vgpr31
                                        ; kill: killed $vgpr63 killed $vgpr64
                                        ; kill: killed $vgpr53 killed $vgpr54
                                        ; kill: killed $vgpr38 killed $vgpr39
                                        ; kill: killed $vgpr57 killed $vgpr58
                                        ; kill: killed $vgpr42 killed $vgpr43
                                        ; kill: killed $vgpr61 killed $vgpr62
                                        ; kill: killed $vgpr46 killed $vgpr47
                                        ; kill: killed $vgpr65 killed $vgpr66
                                        ; kill: killed $vgpr55 killed $vgpr56
                                        ; kill: killed $vgpr40 killed $vgpr41
                                        ; kill: killed $vgpr34 killed $vgpr35
                                        ; kill: killed $vgpr59 killed $vgpr60
                                        ; kill: killed $vgpr44 killed $vgpr45
                                        ; kill: killed $vgpr36 killed $vgpr37
	global_load_dwordx2 v[30:31], v[67:68], off
	global_load_dwordx2 v[34:35], v[69:70], off
.LBB0_13:
	s_or_b64 exec, exec, s[4:5]
	s_waitcnt vmcnt(0)
	v_add_f32_e32 v37, v32, v34
	v_mul_f32_e32 v39, 0x3f6eb680, v37
	v_mul_f32_e32 v41, 0x3f3d2fb0, v37
	v_mul_f32_e32 v43, 0x3ee437d1, v37
	v_mul_f32_e32 v45, 0x3dbcf732, v37
	v_mul_f32_e32 v47, 0xbe8c1d8e, v37
	v_mul_f32_e32 v54, 0xbf1a4643, v37
	v_mul_f32_e32 v56, 0xbf59a7d5, v37
	v_mul_f32_e32 v37, 0xbf7ba420, v37
	v_sub_f32_e32 v38, v33, v35
	v_mov_b32_e32 v40, v39
	v_mov_b32_e32 v42, v41
	;; [unrolled: 1-line block ×8, first 2 shown]
	v_fmac_f32_e32 v40, 0x3eb8f4ab, v38
	v_fmac_f32_e32 v39, 0xbeb8f4ab, v38
	v_fmac_f32_e32 v42, 0x3f2c7751, v38
	v_fmac_f32_e32 v41, 0xbf2c7751, v38
	v_fmac_f32_e32 v44, 0x3f65296c, v38
	v_fmac_f32_e32 v43, 0xbf65296c, v38
	v_fmac_f32_e32 v46, 0x3f7ee86f, v38
	v_fmac_f32_e32 v45, 0xbf7ee86f, v38
	v_fmac_f32_e32 v53, 0x3f763a35, v38
	v_fmac_f32_e32 v47, 0xbf763a35, v38
	v_fmac_f32_e32 v55, 0x3f4c4adb, v38
	v_fmac_f32_e32 v54, 0xbf4c4adb, v38
	v_fmac_f32_e32 v57, 0x3f06c442, v38
	v_fmac_f32_e32 v56, 0xbf06c442, v38
	v_fmac_f32_e32 v58, 0x3e3c28d5, v38
	v_fmac_f32_e32 v37, 0xbe3c28d5, v38
	v_add_f32_e32 v36, v32, v26
	v_add_f32_e32 v40, v40, v26
	;; [unrolled: 1-line block ×18, first 2 shown]
	v_sub_f32_e32 v38, v29, v31
	v_mul_f32_e32 v59, 0x3f3d2fb0, v37
	v_mov_b32_e32 v60, v59
	v_fmac_f32_e32 v59, 0xbf2c7751, v38
	v_fmac_f32_e32 v60, 0x3f2c7751, v38
	v_add_f32_e32 v39, v59, v39
	v_mul_f32_e32 v59, 0x3dbcf732, v37
	v_add_f32_e32 v40, v60, v40
	v_mov_b32_e32 v60, v59
	v_fmac_f32_e32 v59, 0xbf7ee86f, v38
	v_fmac_f32_e32 v60, 0x3f7ee86f, v38
	v_add_f32_e32 v41, v59, v41
	v_mul_f32_e32 v59, 0xbf1a4643, v37
	v_add_f32_e32 v42, v60, v42
	v_mov_b32_e32 v60, v59
	v_fmac_f32_e32 v59, 0xbf4c4adb, v38
	v_fmac_f32_e32 v60, 0x3f4c4adb, v38
	v_add_f32_e32 v43, v59, v43
	v_mul_f32_e32 v59, 0xbf7ba420, v37
	v_add_f32_e32 v44, v60, v44
	v_mov_b32_e32 v60, v59
	v_fmac_f32_e32 v59, 0xbe3c28d5, v38
	v_fmac_f32_e32 v60, 0x3e3c28d5, v38
	v_add_f32_e32 v45, v59, v45
	v_mul_f32_e32 v59, 0xbf59a7d5, v37
	v_add_f32_e32 v46, v60, v46
	v_mov_b32_e32 v60, v59
	v_fmac_f32_e32 v59, 0x3f06c442, v38
	v_fmac_f32_e32 v60, 0xbf06c442, v38
	v_add_f32_e32 v47, v59, v47
	v_mul_f32_e32 v59, 0xbe8c1d8e, v37
	v_add_f32_e32 v53, v60, v53
	v_mov_b32_e32 v60, v59
	v_fmac_f32_e32 v59, 0x3f763a35, v38
	v_fmac_f32_e32 v60, 0xbf763a35, v38
	v_add_f32_e32 v54, v59, v54
	v_mul_f32_e32 v59, 0x3ee437d1, v37
	v_add_f32_e32 v55, v60, v55
	v_mov_b32_e32 v60, v59
	v_fmac_f32_e32 v59, 0x3f65296c, v38
	v_mul_f32_e32 v37, 0x3f6eb680, v37
	v_add_f32_e32 v56, v59, v56
	v_mov_b32_e32 v59, v37
	v_fmac_f32_e32 v37, 0x3eb8f4ab, v38
	v_fmac_f32_e32 v59, 0xbeb8f4ab, v38
	v_add_f32_e32 v26, v37, v26
	v_add_f32_e32 v37, v22, v24
	v_fmac_f32_e32 v60, 0xbf65296c, v38
	v_add_f32_e32 v58, v59, v58
	v_sub_f32_e32 v38, v23, v25
	v_mul_f32_e32 v59, 0x3ee437d1, v37
	v_add_f32_e32 v57, v60, v57
	v_mov_b32_e32 v60, v59
	v_fmac_f32_e32 v59, 0xbf65296c, v38
	v_fmac_f32_e32 v60, 0x3f65296c, v38
	v_add_f32_e32 v39, v59, v39
	v_mul_f32_e32 v59, 0xbf1a4643, v37
	v_add_f32_e32 v40, v60, v40
	v_mov_b32_e32 v60, v59
	v_fmac_f32_e32 v59, 0xbf4c4adb, v38
	v_fmac_f32_e32 v60, 0x3f4c4adb, v38
	v_add_f32_e32 v41, v59, v41
	v_mul_f32_e32 v59, 0xbf7ba420, v37
	v_add_f32_e32 v42, v60, v42
	v_mov_b32_e32 v60, v59
	v_fmac_f32_e32 v59, 0x3e3c28d5, v38
	v_fmac_f32_e32 v60, 0xbe3c28d5, v38
	v_add_f32_e32 v43, v59, v43
	v_mul_f32_e32 v59, 0xbe8c1d8e, v37
	v_add_f32_e32 v44, v60, v44
	v_mov_b32_e32 v60, v59
	v_fmac_f32_e32 v59, 0x3f763a35, v38
	v_fmac_f32_e32 v60, 0xbf763a35, v38
	v_add_f32_e32 v45, v59, v45
	v_mul_f32_e32 v59, 0x3f3d2fb0, v37
	v_add_f32_e32 v46, v60, v46
	v_mov_b32_e32 v60, v59
	v_fmac_f32_e32 v59, 0x3f2c7751, v38
	v_fmac_f32_e32 v60, 0xbf2c7751, v38
	v_add_f32_e32 v47, v59, v47
	v_mul_f32_e32 v59, 0x3f6eb680, v37
	v_add_f32_e32 v53, v60, v53
	v_mov_b32_e32 v60, v59
	v_fmac_f32_e32 v59, 0xbeb8f4ab, v38
	v_fmac_f32_e32 v60, 0x3eb8f4ab, v38
	v_add_f32_e32 v54, v59, v54
	v_mul_f32_e32 v59, 0x3dbcf732, v37
	v_add_f32_e32 v55, v60, v55
	v_mov_b32_e32 v60, v59
	v_fmac_f32_e32 v59, 0xbf7ee86f, v38
	v_mul_f32_e32 v37, 0xbf59a7d5, v37
	v_add_f32_e32 v56, v59, v56
	v_mov_b32_e32 v59, v37
	v_fmac_f32_e32 v37, 0xbf06c442, v38
	v_fmac_f32_e32 v59, 0x3f06c442, v38
	v_add_f32_e32 v26, v37, v26
	v_add_f32_e32 v37, v18, v20
	v_fmac_f32_e32 v60, 0x3f7ee86f, v38
	v_add_f32_e32 v58, v59, v58
	v_sub_f32_e32 v38, v19, v21
	v_mul_f32_e32 v59, 0x3dbcf732, v37
	v_add_f32_e32 v57, v60, v57
	;; [unrolled: 50-line block ×5, first 2 shown]
	v_mov_b32_e32 v60, v59
	v_fmac_f32_e32 v59, 0xbf06c442, v38
	v_fmac_f32_e32 v60, 0x3f06c442, v38
	v_add_f32_e32 v39, v59, v39
	v_mul_f32_e32 v59, 0x3ee437d1, v37
	v_add_f32_e32 v40, v60, v40
	v_mov_b32_e32 v60, v59
	v_fmac_f32_e32 v59, 0x3f65296c, v38
	v_fmac_f32_e32 v60, 0xbf65296c, v38
	v_add_f32_e32 v41, v59, v41
	v_mul_f32_e32 v59, 0x3dbcf732, v37
	v_add_f32_e32 v42, v60, v42
	;; [unrolled: 6-line block ×6, first 2 shown]
	v_mov_b32_e32 v60, v59
	v_fmac_f32_e32 v59, 0x3f2c7751, v38
	v_mul_f32_e32 v37, 0xbe8c1d8e, v37
	v_add_f32_e32 v59, v59, v56
	v_mov_b32_e32 v56, v37
	v_fmac_f32_e32 v60, 0xbf2c7751, v38
	v_fmac_f32_e32 v56, 0x3f763a35, v38
	v_fmac_f32_e32 v37, 0xbf763a35, v38
	v_add_f32_e32 v38, v2, v4
	v_add_f32_e32 v37, v37, v26
	v_mul_f32_e32 v26, 0xbf7ba420, v38
	v_add_f32_e32 v57, v60, v57
	v_add_f32_e32 v58, v56, v58
	v_sub_f32_e32 v60, v3, v5
	v_mov_b32_e32 v56, v26
	v_fmac_f32_e32 v56, 0x3e3c28d5, v60
	v_fmac_f32_e32 v26, 0xbe3c28d5, v60
	v_add_f32_e32 v36, v28, v36
	v_add_f32_e32 v40, v56, v40
	;; [unrolled: 1-line block ×3, first 2 shown]
	v_mul_f32_e32 v26, 0x3f6eb680, v38
	v_add_f32_e32 v36, v22, v36
	v_mov_b32_e32 v39, v26
	v_fmac_f32_e32 v26, 0x3eb8f4ab, v60
	v_add_f32_e32 v36, v18, v36
	v_fmac_f32_e32 v39, 0xbeb8f4ab, v60
	v_add_f32_e32 v26, v26, v41
	v_mul_f32_e32 v41, 0xbf59a7d5, v38
	v_add_f32_e32 v36, v14, v36
	v_add_f32_e32 v39, v39, v42
	v_mov_b32_e32 v42, v41
	v_fmac_f32_e32 v41, 0xbf06c442, v60
	v_add_f32_e32 v36, v10, v36
	v_fmac_f32_e32 v42, 0x3f06c442, v60
	v_add_f32_e32 v41, v41, v43
	v_mul_f32_e32 v43, 0x3f3d2fb0, v38
	v_add_f32_e32 v36, v6, v36
	;; [unrolled: 8-line block ×5, first 2 shown]
	v_add_f32_e32 v53, v53, v55
	v_mov_b32_e32 v55, v54
	v_add_f32_e32 v36, v24, v36
	v_fmac_f32_e32 v55, 0x3f763a35, v60
	v_mul_f32_e32 v38, 0x3dbcf732, v38
	v_add_f32_e32 v36, v30, v36
	v_add_f32_e32 v55, v55, v57
	v_mov_b32_e32 v57, v38
	s_movk_i32 s0, 0x44
	v_add_f32_e32 v36, v34, v36
	v_fmac_f32_e32 v54, 0xbf763a35, v60
	v_fmac_f32_e32 v57, 0xbf7ee86f, v60
	;; [unrolled: 1-line block ×3, first 2 shown]
	v_mad_u32_u24 v61, v49, s0, 0
	v_add_f32_e32 v54, v54, v59
	v_add_f32_e32 v57, v57, v58
	;; [unrolled: 1-line block ×3, first 2 shown]
	ds_write2_b32 v61, v36, v40 offset1:1
	ds_write2_b32 v61, v39, v42 offset0:2 offset1:3
	ds_write2_b32 v61, v44, v46 offset0:4 offset1:5
	;; [unrolled: 1-line block ×7, first 2 shown]
	ds_write_b32 v61, v56 offset:64
	v_lshlrev_b32_e32 v53, 6, v49
	v_sub_u32_e32 v57, v61, v53
	v_add_u32_e32 v36, 0x400, v57
	v_add_u32_e32 v38, 0xc00, v57
	;; [unrolled: 1-line block ×3, first 2 shown]
	s_waitcnt lgkmcnt(0)
	s_barrier
	ds_read2_b32 v[42:43], v36 offset0:33 offset1:118
	v_add_u32_e32 v36, 0x600, v57
	ds_read2_b32 v[46:47], v38 offset0:99 offset1:184
	v_add_u32_e32 v38, 0x1000, v57
	v_lshl_add_u32 v54, v52, 2, 0
	ds_read2_b32 v[44:45], v40 offset0:151 offset1:236
	v_add_u32_e32 v40, 0x1200, v57
	ds_read2_b32 v[36:37], v36 offset0:75 offset1:194
	ds_read2_b32 v[38:39], v38 offset0:13 offset1:132
	ds_read_b32 v58, v54
	ds_read2_b32 v[40:41], v40 offset0:89 offset1:174
	v_lshl_add_u32 v55, v51, 2, 0
	ds_read_b32 v60, v57
	ds_read_b32 v59, v55
	v_sub_u32_e32 v53, 0, v53
	s_mov_b32 s14, 0x3f6eb680
	s_mov_b32 s10, 0x3f3d2fb0
	;; [unrolled: 1-line block ×8, first 2 shown]
	v_cmp_gt_u32_e64 s[0:1], 34, v49
	v_add_u32_e32 v53, v61, v53
	v_lshl_add_u32 v57, v50, 2, 0
                                        ; implicit-def: $vgpr62
                                        ; implicit-def: $vgpr63
                                        ; implicit-def: $vgpr64
	s_and_saveexec_b64 s[4:5], s[0:1]
	s_cbranch_execz .LBB0_15
; %bb.14:
	ds_read_b32 v56, v53 offset:2176
	ds_read_b32 v64, v53 offset:3332
	;; [unrolled: 1-line block ×3, first 2 shown]
	ds_read_b32 v26, v57
	ds_read_b32 v62, v53 offset:5644
.LBB0_15:
	s_or_b64 exec, exec, s[4:5]
	v_add_f32_e32 v65, v33, v27
	v_add_f32_e32 v65, v29, v65
	;; [unrolled: 1-line block ×14, first 2 shown]
	v_sub_f32_e32 v32, v32, v34
	v_add_f32_e32 v65, v31, v65
	v_mul_f32_e32 v34, 0xbeb8f4ab, v32
	v_mul_f32_e32 v66, 0xbf2c7751, v32
	;; [unrolled: 1-line block ×8, first 2 shown]
	v_add_f32_e32 v65, v35, v65
	v_add_f32_e32 v33, v33, v35
	v_mov_b32_e32 v35, v34
	v_mov_b32_e32 v67, v66
	;; [unrolled: 1-line block ×8, first 2 shown]
	v_sub_f32_e32 v28, v28, v30
	v_fmac_f32_e32 v35, 0x3f6eb680, v33
	v_fma_f32 v34, v33, s14, -v34
	v_fmac_f32_e32 v67, 0x3f3d2fb0, v33
	v_fma_f32 v66, v33, s10, -v66
	;; [unrolled: 2-line block ×8, first 2 shown]
	v_add_f32_e32 v29, v29, v31
	v_mul_f32_e32 v30, 0xbf2c7751, v28
	v_add_f32_e32 v35, v35, v27
	v_add_f32_e32 v34, v34, v27
	;; [unrolled: 1-line block ×16, first 2 shown]
	v_mov_b32_e32 v31, v30
	v_fma_f32 v30, v29, s10, -v30
	v_mul_f32_e32 v32, 0xbf7ee86f, v28
	v_fmac_f32_e32 v31, 0x3f3d2fb0, v29
	v_add_f32_e32 v30, v30, v34
	v_mov_b32_e32 v33, v32
	v_fma_f32 v32, v29, s6, -v32
	v_mul_f32_e32 v34, 0xbf4c4adb, v28
	v_add_f32_e32 v31, v31, v35
	v_fmac_f32_e32 v33, 0x3dbcf732, v29
	v_add_f32_e32 v32, v32, v66
	v_mov_b32_e32 v35, v34
	v_fma_f32 v34, v29, s15, -v34
	v_mul_f32_e32 v66, 0xbe3c28d5, v28
	v_add_f32_e32 v33, v33, v67
	;; [unrolled: 6-line block ×4, first 2 shown]
	v_add_f32_e32 v68, v68, v72
	v_mov_b32_e32 v71, v70
	v_fma_f32 v70, v29, s11, -v70
	v_mul_f32_e32 v72, 0x3f65296c, v28
	v_mul_f32_e32 v28, 0x3eb8f4ab, v28
	v_sub_f32_e32 v22, v22, v24
	v_fmac_f32_e32 v69, 0xbf59a7d5, v29
	v_add_f32_e32 v70, v70, v74
	v_mov_b32_e32 v74, v28
	v_fma_f32 v28, v29, s14, -v28
	v_add_f32_e32 v23, v23, v25
	v_mul_f32_e32 v24, 0xbf65296c, v22
	v_add_f32_e32 v69, v69, v73
	v_mov_b32_e32 v73, v72
	v_add_f32_e32 v27, v28, v27
	v_mov_b32_e32 v25, v24
	v_fma_f32 v24, v23, s7, -v24
	v_mul_f32_e32 v28, 0xbf4c4adb, v22
	v_fmac_f32_e32 v71, 0xbe8c1d8e, v29
	v_fmac_f32_e32 v73, 0x3ee437d1, v29
	v_fma_f32 v72, v29, s7, -v72
	v_fmac_f32_e32 v74, 0x3f6eb680, v29
	v_fmac_f32_e32 v25, 0x3ee437d1, v23
	v_add_f32_e32 v24, v24, v30
	v_mov_b32_e32 v29, v28
	v_fma_f32 v28, v23, s15, -v28
	v_mul_f32_e32 v30, 0x3e3c28d5, v22
	v_add_f32_e32 v25, v25, v31
	v_fmac_f32_e32 v29, 0xbf1a4643, v23
	v_add_f32_e32 v28, v28, v32
	v_mov_b32_e32 v31, v30
	v_fma_f32 v30, v23, s17, -v30
	v_mul_f32_e32 v32, 0x3f763a35, v22
	v_add_f32_e32 v29, v29, v33
	v_fmac_f32_e32 v31, 0xbf7ba420, v23
	v_add_f32_e32 v30, v30, v34
	v_mov_b32_e32 v33, v32
	v_fma_f32 v32, v23, s11, -v32
	v_mul_f32_e32 v34, 0x3f2c7751, v22
	v_add_f32_e32 v31, v31, v35
	v_fmac_f32_e32 v33, 0xbe8c1d8e, v23
	v_add_f32_e32 v32, v32, v66
	v_mov_b32_e32 v35, v34
	v_fma_f32 v34, v23, s10, -v34
	v_mul_f32_e32 v66, 0xbeb8f4ab, v22
	v_sub_f32_e32 v18, v18, v20
	v_add_f32_e32 v33, v33, v67
	v_fmac_f32_e32 v35, 0x3f3d2fb0, v23
	v_add_f32_e32 v34, v34, v68
	v_mov_b32_e32 v67, v66
	v_fma_f32 v66, v23, s14, -v66
	v_mul_f32_e32 v68, 0xbf7ee86f, v22
	v_mul_f32_e32 v22, 0xbf06c442, v22
	v_mul_f32_e32 v20, 0xbf7ee86f, v18
	v_add_f32_e32 v35, v35, v69
	v_add_f32_e32 v66, v66, v70
	v_mov_b32_e32 v69, v68
	v_mov_b32_e32 v70, v22
	v_add_f32_e32 v19, v19, v21
	v_mov_b32_e32 v21, v20
	v_fmac_f32_e32 v67, 0x3f6eb680, v23
	v_fmac_f32_e32 v69, 0x3dbcf732, v23
	v_fma_f32 v68, v23, s6, -v68
	v_fmac_f32_e32 v70, 0xbf59a7d5, v23
	v_fma_f32 v22, v23, s16, -v22
	v_fmac_f32_e32 v21, 0x3dbcf732, v19
	v_fma_f32 v20, v19, s6, -v20
	v_mul_f32_e32 v23, 0xbe3c28d5, v18
	v_add_f32_e32 v21, v21, v25
	v_add_f32_e32 v20, v20, v24
	v_mov_b32_e32 v24, v23
	v_fma_f32 v23, v19, s17, -v23
	v_mul_f32_e32 v25, 0x3f763a35, v18
	v_add_f32_e32 v22, v22, v27
	v_fmac_f32_e32 v24, 0xbf7ba420, v19
	v_add_f32_e32 v23, v23, v28
	v_mov_b32_e32 v27, v25
	v_fma_f32 v25, v19, s11, -v25
	v_mul_f32_e32 v28, 0x3eb8f4ab, v18
	v_add_f32_e32 v24, v24, v29
	v_fmac_f32_e32 v27, 0xbe8c1d8e, v19
	v_add_f32_e32 v25, v25, v30
	v_mov_b32_e32 v29, v28
	v_fma_f32 v28, v19, s14, -v28
	v_mul_f32_e32 v30, 0xbf65296c, v18
	v_add_f32_e32 v27, v27, v31
	v_fmac_f32_e32 v29, 0x3f6eb680, v19
	v_add_f32_e32 v28, v28, v32
	v_mov_b32_e32 v31, v30
	v_fma_f32 v30, v19, s7, -v30
	v_mul_f32_e32 v32, 0xbf06c442, v18
	v_sub_f32_e32 v14, v14, v16
	v_add_f32_e32 v29, v29, v33
	v_fmac_f32_e32 v31, 0x3ee437d1, v19
	v_add_f32_e32 v30, v30, v34
	v_mov_b32_e32 v33, v32
	v_fma_f32 v32, v19, s16, -v32
	v_mul_f32_e32 v34, 0x3f4c4adb, v18
	v_mul_f32_e32 v18, 0x3f2c7751, v18
	v_mul_f32_e32 v16, 0xbf763a35, v14
	v_add_f32_e32 v31, v31, v35
	v_add_f32_e32 v32, v32, v66
	v_mov_b32_e32 v35, v34
	v_mov_b32_e32 v66, v18
	v_add_f32_e32 v15, v15, v17
	v_mov_b32_e32 v17, v16
	v_fmac_f32_e32 v33, 0xbf59a7d5, v19
	v_fmac_f32_e32 v35, 0xbf1a4643, v19
	v_fma_f32 v34, v19, s15, -v34
	v_fmac_f32_e32 v66, 0x3f3d2fb0, v19
	v_fma_f32 v18, v19, s10, -v18
	v_fmac_f32_e32 v17, 0xbe8c1d8e, v15
	v_fma_f32 v16, v15, s11, -v16
	v_mul_f32_e32 v19, 0x3f06c442, v14
	v_add_f32_e32 v17, v17, v21
	v_add_f32_e32 v16, v16, v20
	v_mov_b32_e32 v20, v19
	v_fma_f32 v19, v15, s16, -v19
	v_mul_f32_e32 v21, 0x3f2c7751, v14
	v_add_f32_e32 v18, v18, v22
	v_fmac_f32_e32 v20, 0xbf59a7d5, v15
	v_add_f32_e32 v19, v19, v23
	v_mov_b32_e32 v22, v21
	v_fma_f32 v21, v15, s10, -v21
	v_mul_f32_e32 v23, 0xbf65296c, v14
	v_add_f32_e32 v20, v20, v24
	v_fmac_f32_e32 v22, 0x3f3d2fb0, v15
	v_add_f32_e32 v21, v21, v25
	v_mov_b32_e32 v24, v23
	v_fma_f32 v23, v15, s7, -v23
	v_mul_f32_e32 v25, 0xbe3c28d5, v14
	v_add_f32_e32 v22, v22, v27
	;; [unrolled: 46-line block ×3, first 2 shown]
	v_fmac_f32_e32 v20, 0xbf59a7d5, v11
	v_add_f32_e32 v19, v19, v23
	v_mov_b32_e32 v22, v21
	v_fma_f32 v21, v11, s6, -v21
	v_mul_f32_e32 v23, 0xbf2c7751, v10
	v_add_f32_e32 v20, v20, v24
	v_fmac_f32_e32 v22, 0x3dbcf732, v11
	v_add_f32_e32 v21, v21, v25
	v_mov_b32_e32 v24, v23
	v_fma_f32 v23, v11, s10, -v23
	v_mul_f32_e32 v25, 0xbe3c28d5, v10
	v_mul_f32_e32 v10, 0x3f65296c, v10
	v_sub_f32_e32 v6, v6, v8
	v_add_f32_e32 v22, v22, v27
	v_add_f32_e32 v23, v23, v28
	v_mov_b32_e32 v27, v25
	v_mov_b32_e32 v28, v10
	v_add_f32_e32 v7, v7, v9
	v_mul_f32_e32 v8, 0xbf06c442, v6
	v_fmac_f32_e32 v24, 0x3f3d2fb0, v11
	v_fmac_f32_e32 v27, 0xbf7ba420, v11
	v_fma_f32 v25, v11, s17, -v25
	v_fmac_f32_e32 v28, 0x3ee437d1, v11
	v_fma_f32 v10, v11, s7, -v10
	v_mov_b32_e32 v9, v8
	v_fma_f32 v8, v7, s16, -v8
	v_mul_f32_e32 v11, 0x3f65296c, v6
	v_fmac_f32_e32 v9, 0xbf59a7d5, v7
	v_add_f32_e32 v8, v8, v12
	v_mov_b32_e32 v12, v11
	v_fma_f32 v11, v7, s7, -v11
	v_add_f32_e32 v9, v9, v13
	v_fmac_f32_e32 v12, 0x3ee437d1, v7
	v_add_f32_e32 v11, v11, v15
	v_mul_f32_e32 v13, 0xbf7ee86f, v6
	v_mul_f32_e32 v15, 0x3f4c4adb, v6
	v_add_f32_e32 v10, v10, v14
	v_add_f32_e32 v12, v12, v16
	v_mov_b32_e32 v14, v13
	v_fma_f32 v13, v7, s6, -v13
	v_mov_b32_e32 v16, v15
	v_fma_f32 v15, v7, s15, -v15
	v_fmac_f32_e32 v14, 0x3dbcf732, v7
	v_add_f32_e32 v13, v13, v17
	v_add_f32_e32 v17, v15, v19
	v_mul_f32_e32 v15, 0xbeb8f4ab, v6
	v_add_f32_e32 v71, v71, v75
	v_add_f32_e32 v72, v72, v76
	;; [unrolled: 1-line block ×3, first 2 shown]
	v_mov_b32_e32 v18, v15
	v_fma_f32 v15, v7, s14, -v15
	v_add_f32_e32 v67, v67, v71
	v_add_f32_e32 v68, v68, v72
	v_fmac_f32_e32 v16, 0xbf1a4643, v7
	v_add_f32_e32 v19, v15, v21
	v_mul_f32_e32 v15, 0xbe3c28d5, v6
	v_add_f32_e32 v74, v74, v78
	v_add_f32_e32 v33, v33, v67
	;; [unrolled: 1-line block ×4, first 2 shown]
	v_mov_b32_e32 v20, v15
	v_fma_f32 v15, v7, s17, -v15
	v_sub_f32_e32 v2, v2, v4
	v_add_f32_e32 v70, v70, v74
	v_add_f32_e32 v29, v29, v33
	;; [unrolled: 1-line block ×3, first 2 shown]
	v_fmac_f32_e32 v18, 0x3f6eb680, v7
	v_add_f32_e32 v21, v15, v23
	v_mul_f32_e32 v15, 0x3f2c7751, v6
	v_add_f32_e32 v3, v3, v5
	v_mul_f32_e32 v4, 0xbe3c28d5, v2
	v_add_f32_e32 v66, v66, v70
	v_add_f32_e32 v24, v24, v29
	;; [unrolled: 1-line block ×4, first 2 shown]
	v_fmac_f32_e32 v20, 0xbf7ba420, v7
	v_mov_b32_e32 v22, v15
	v_fma_f32 v15, v7, s10, -v15
	v_mul_f32_e32 v6, 0xbf763a35, v6
	v_mov_b32_e32 v5, v4
	v_fma_f32 v4, v3, s17, -v4
	v_add_f32_e32 v32, v32, v66
	v_add_f32_e32 v20, v20, v24
	;; [unrolled: 1-line block ×3, first 2 shown]
	v_mov_b32_e32 v15, v6
	v_fmac_f32_e32 v5, 0xbf7ba420, v3
	v_add_f32_e32 v23, v4, v8
	v_mul_f32_e32 v4, 0x3eb8f4ab, v2
	v_add_f32_e32 v73, v73, v77
	v_add_f32_e32 v28, v28, v32
	v_fmac_f32_e32 v22, 0x3f3d2fb0, v7
	v_fmac_f32_e32 v15, 0xbe8c1d8e, v7
	v_fma_f32 v6, v7, s11, -v6
	v_add_f32_e32 v5, v5, v9
	v_mov_b32_e32 v7, v4
	v_fma_f32 v4, v3, s14, -v4
	v_mul_f32_e32 v9, 0x3f2c7751, v2
	v_add_f32_e32 v69, v69, v73
	v_add_f32_e32 v25, v15, v28
	;; [unrolled: 1-line block ×3, first 2 shown]
	v_fmac_f32_e32 v7, 0x3f6eb680, v3
	v_add_f32_e32 v15, v4, v11
	v_mul_f32_e32 v4, 0xbf06c442, v2
	v_mov_b32_e32 v10, v9
	v_mul_f32_e32 v11, 0xbf4c4adb, v2
	v_add_f32_e32 v35, v35, v69
	v_add_f32_e32 v7, v7, v12
	v_mov_b32_e32 v8, v4
	v_fma_f32 v4, v3, s16, -v4
	v_fmac_f32_e32 v10, 0x3f3d2fb0, v3
	v_mov_b32_e32 v12, v11
	v_add_f32_e32 v31, v31, v35
	v_fmac_f32_e32 v8, 0xbf59a7d5, v3
	v_add_f32_e32 v4, v4, v13
	v_add_f32_e32 v10, v10, v16
	v_fma_f32 v9, v3, s10, -v9
	v_fmac_f32_e32 v12, 0xbf1a4643, v3
	v_mul_f32_e32 v13, 0x3f65296c, v2
	v_mul_f32_e32 v16, 0xbf763a35, v2
	;; [unrolled: 1-line block ×3, first 2 shown]
	v_add_f32_e32 v27, v27, v31
	v_add_f32_e32 v8, v8, v14
	;; [unrolled: 1-line block ×4, first 2 shown]
	v_mov_b32_e32 v14, v13
	v_mov_b32_e32 v17, v16
	;; [unrolled: 1-line block ×3, first 2 shown]
	v_fma_f32 v2, v3, s6, -v2
	v_add_f32_e32 v22, v22, v27
	v_fma_f32 v11, v3, s15, -v11
	v_fmac_f32_e32 v14, 0x3ee437d1, v3
	v_fma_f32 v13, v3, s7, -v13
	v_fmac_f32_e32 v17, 0xbe8c1d8e, v3
	;; [unrolled: 2-line block ×3, first 2 shown]
	v_add_f32_e32 v2, v2, v6
	v_add_f32_e32 v11, v11, v19
	;; [unrolled: 1-line block ×7, first 2 shown]
	s_waitcnt lgkmcnt(0)
	s_barrier
	ds_write2_b32 v61, v65, v5 offset1:1
	ds_write2_b32 v61, v7, v8 offset0:2 offset1:3
	ds_write2_b32 v61, v10, v12 offset0:4 offset1:5
	;; [unrolled: 1-line block ×7, first 2 shown]
	ds_write_b32 v61, v23 offset:64
	v_add_u32_e32 v2, 0x400, v53
	v_add_u32_e32 v4, 0xc00, v53
	s_waitcnt lgkmcnt(0)
	s_barrier
	ds_read2_b32 v[10:11], v2 offset0:33 offset1:118
	v_add_u32_e32 v2, 0x600, v53
	ds_read2_b32 v[12:13], v4 offset0:99 offset1:184
	v_add_u32_e32 v4, 0x1000, v53
	v_add_u32_e32 v6, 0x800, v53
	ds_read2_b32 v[2:3], v2 offset0:75 offset1:194
	ds_read2_b32 v[4:5], v4 offset0:13 offset1:132
	ds_read_b32 v16, v54
	ds_read2_b32 v[8:9], v6 offset0:151 offset1:236
	v_add_u32_e32 v6, 0x1200, v53
	ds_read2_b32 v[6:7], v6 offset0:89 offset1:174
	ds_read_b32 v18, v53
	ds_read_b32 v17, v55
                                        ; implicit-def: $vgpr65
                                        ; implicit-def: $vgpr27
                                        ; implicit-def: $vgpr25
	s_and_saveexec_b64 s[4:5], s[0:1]
	s_cbranch_execz .LBB0_17
; %bb.16:
	ds_read_b32 v23, v53 offset:2176
	ds_read_b32 v25, v53 offset:3332
	;; [unrolled: 1-line block ×3, first 2 shown]
	ds_read_b32 v15, v57
	ds_read_b32 v65, v53 offset:5644
.LBB0_17:
	s_or_b64 exec, exec, s[4:5]
	s_movk_i32 s4, 0xf1
	v_mul_lo_u16_sdwa v14, v49, s4 dst_sel:DWORD dst_unused:UNUSED_PAD src0_sel:BYTE_0 src1_sel:DWORD
	v_lshrrev_b16_e32 v94, 12, v14
	v_mul_lo_u16_e32 v14, 17, v94
	v_sub_u16_e32 v14, v49, v14
	v_mov_b32_e32 v19, 5
	v_lshlrev_b32_sdwa v20, v19, v14 dst_sel:DWORD dst_unused:UNUSED_PAD src0_sel:DWORD src1_sel:BYTE_0
	global_load_dwordx4 v[28:31], v20, s[8:9]
	global_load_dwordx4 v[66:69], v20, s[8:9] offset:16
	v_mul_lo_u16_sdwa v20, v52, s4 dst_sel:DWORD dst_unused:UNUSED_PAD src0_sel:BYTE_0 src1_sel:DWORD
	v_lshrrev_b16_e32 v95, 12, v20
	v_mul_lo_u16_e32 v20, 17, v95
	v_sub_u16_e32 v20, v52, v20
	v_lshlrev_b32_sdwa v21, v19, v20 dst_sel:DWORD dst_unused:UNUSED_PAD src0_sel:DWORD src1_sel:BYTE_0
	global_load_dwordx4 v[70:73], v21, s[8:9]
	global_load_dwordx4 v[74:77], v21, s[8:9] offset:16
	v_mul_lo_u16_sdwa v21, v51, s4 dst_sel:DWORD dst_unused:UNUSED_PAD src0_sel:BYTE_0 src1_sel:DWORD
	v_lshrrev_b16_e32 v96, 12, v21
	v_mul_lo_u16_e32 v21, 17, v96
	v_sub_u16_e32 v21, v51, v21
	v_lshlrev_b32_sdwa v19, v19, v21 dst_sel:DWORD dst_unused:UNUSED_PAD src0_sel:DWORD src1_sel:BYTE_0
	s_mov_b32 s4, 0xf0f1
	global_load_dwordx4 v[78:81], v19, s[8:9]
	global_load_dwordx4 v[82:85], v19, s[8:9] offset:16
	v_mul_u32_u24_sdwa v19, v50, s4 dst_sel:DWORD dst_unused:UNUSED_PAD src0_sel:WORD_0 src1_sel:DWORD
	v_lshrrev_b32_e32 v19, 20, v19
	v_mul_lo_u16_e32 v22, 17, v19
	v_sub_u16_e32 v97, v50, v22
	v_lshlrev_b32_e32 v22, 5, v97
	global_load_dwordx4 v[86:89], v22, s[8:9]
	global_load_dwordx4 v[90:93], v22, s[8:9] offset:16
	v_mov_b32_e32 v22, 2
	v_lshlrev_b32_sdwa v98, v22, v14 dst_sel:DWORD dst_unused:UNUSED_PAD src0_sel:DWORD src1_sel:BYTE_0
	v_lshlrev_b32_sdwa v99, v22, v20 dst_sel:DWORD dst_unused:UNUSED_PAD src0_sel:DWORD src1_sel:BYTE_0
	;; [unrolled: 1-line block ×3, first 2 shown]
	s_waitcnt vmcnt(0) lgkmcnt(0)
	s_barrier
	v_mul_f32_e32 v34, v10, v29
	v_mul_f32_e32 v50, v42, v29
	;; [unrolled: 1-line block ×6, first 2 shown]
	v_fma_f32 v37, v37, v30, -v29
	v_fma_f32 v46, v46, v66, -v101
	v_mul_f32_e32 v67, v5, v69
	v_mul_f32_e32 v61, v39, v69
	;; [unrolled: 1-line block ×18, first 2 shown]
	v_fmac_f32_e32 v24, v7, v84
	v_add_f32_e32 v7, v37, v46
	v_fmac_f32_e32 v50, v10, v28
	v_fmac_f32_e32 v61, v5, v68
	v_fma_f32 v7, -0.5, v7, v60
	v_fma_f32 v42, v42, v28, -v34
	v_fmac_f32_e32 v51, v3, v30
	v_fmac_f32_e32 v52, v12, v66
	v_fma_f32 v39, v39, v68, -v67
	v_fmac_f32_e32 v33, v13, v74
	v_fmac_f32_e32 v21, v9, v80
	v_sub_f32_e32 v9, v50, v61
	v_mov_b32_e32 v13, v7
	v_fmac_f32_e32 v31, v11, v70
	v_fma_f32 v11, v40, v76, -v75
	v_fma_f32 v3, v36, v78, -v77
	;; [unrolled: 1-line block ×3, first 2 shown]
	v_fmac_f32_e32 v13, 0x3f737871, v9
	v_sub_f32_e32 v36, v51, v52
	v_sub_f32_e32 v38, v42, v37
	;; [unrolled: 1-line block ×3, first 2 shown]
	v_fmac_f32_e32 v7, 0xbf737871, v9
	v_fmac_f32_e32 v35, v6, v76
	v_mul_f32_e32 v6, v27, v91
	v_fmac_f32_e32 v13, 0x3f167918, v36
	v_add_f32_e32 v38, v38, v40
	v_fmac_f32_e32 v7, 0xbf167918, v36
	v_fma_f32 v30, v63, v90, -v6
	v_mul_f32_e32 v6, v65, v93
	v_fmac_f32_e32 v13, 0x3e9e377a, v38
	v_fmac_f32_e32 v7, 0x3e9e377a, v38
	v_add_f32_e32 v38, v42, v39
	v_fma_f32 v34, v62, v92, -v6
	v_add_f32_e32 v6, v60, v42
	v_fmac_f32_e32 v60, -0.5, v38
	v_fma_f32 v10, v44, v72, -v71
	v_fmac_f32_e32 v32, v8, v72
	v_fma_f32 v8, v47, v74, -v73
	v_mov_b32_e32 v40, v60
	v_fmac_f32_e32 v22, v4, v82
	v_fma_f32 v4, v41, v84, -v83
	v_fmac_f32_e32 v40, 0xbf737871, v36
	v_sub_f32_e32 v38, v37, v42
	v_sub_f32_e32 v41, v46, v39
	v_fmac_f32_e32 v60, 0x3f737871, v36
	v_add_f32_e32 v36, v10, v8
	v_fmac_f32_e32 v40, 0x3f167918, v9
	v_add_f32_e32 v38, v38, v41
	v_fmac_f32_e32 v60, 0xbf167918, v9
	v_fma_f32 v36, -0.5, v36, v58
	v_fma_f32 v12, v43, v70, -v69
	v_fmac_f32_e32 v40, 0x3e9e377a, v38
	v_fmac_f32_e32 v60, 0x3e9e377a, v38
	v_sub_f32_e32 v38, v31, v35
	v_mov_b32_e32 v41, v36
	v_fmac_f32_e32 v14, v2, v78
	v_fma_f32 v2, v45, v80, -v79
	v_fmac_f32_e32 v41, 0x3f737871, v38
	v_sub_f32_e32 v43, v32, v33
	v_sub_f32_e32 v44, v12, v10
	;; [unrolled: 1-line block ×3, first 2 shown]
	v_fmac_f32_e32 v36, 0xbf737871, v38
	v_fmac_f32_e32 v41, 0x3f167918, v43
	v_add_f32_e32 v44, v44, v45
	v_fmac_f32_e32 v36, 0xbf167918, v43
	v_fmac_f32_e32 v41, 0x3e9e377a, v44
	;; [unrolled: 1-line block ×3, first 2 shown]
	v_add_f32_e32 v44, v12, v11
	v_add_f32_e32 v9, v58, v12
	v_fmac_f32_e32 v58, -0.5, v44
	v_mov_b32_e32 v44, v58
	v_fmac_f32_e32 v44, 0xbf737871, v43
	v_fmac_f32_e32 v58, 0x3f737871, v43
	;; [unrolled: 1-line block ×4, first 2 shown]
	v_add_f32_e32 v38, v59, v3
	v_add_f32_e32 v38, v38, v2
	v_sub_f32_e32 v45, v10, v12
	v_sub_f32_e32 v47, v8, v11
	v_add_f32_e32 v38, v38, v5
	v_mul_f32_e32 v20, v56, v87
	v_add_f32_e32 v45, v45, v47
	v_add_f32_e32 v43, v38, v4
	;; [unrolled: 1-line block ×3, first 2 shown]
	v_mul_f32_e32 v85, v23, v87
	v_fmac_f32_e32 v20, v23, v86
	v_mul_f32_e32 v23, v64, v89
	v_fmac_f32_e32 v44, 0x3e9e377a, v45
	v_fmac_f32_e32 v58, 0x3e9e377a, v45
	v_fma_f32 v45, -0.5, v38, v59
	v_mul_f32_e32 v87, v25, v89
	v_fmac_f32_e32 v23, v25, v88
	v_mul_f32_e32 v25, v63, v91
	v_sub_f32_e32 v38, v14, v24
	v_mov_b32_e32 v47, v45
	v_fma_f32 v28, v56, v86, -v85
	v_fmac_f32_e32 v25, v27, v90
	v_mul_f32_e32 v27, v62, v93
	v_fmac_f32_e32 v47, 0x3f737871, v38
	v_sub_f32_e32 v56, v21, v22
	v_sub_f32_e32 v62, v3, v2
	;; [unrolled: 1-line block ×3, first 2 shown]
	v_fmac_f32_e32 v45, 0xbf737871, v38
	v_fmac_f32_e32 v47, 0x3f167918, v56
	v_add_f32_e32 v62, v62, v63
	v_fmac_f32_e32 v45, 0xbf167918, v56
	v_fmac_f32_e32 v47, 0x3e9e377a, v62
	;; [unrolled: 1-line block ×3, first 2 shown]
	v_add_f32_e32 v62, v3, v4
	v_fmac_f32_e32 v59, -0.5, v62
	v_mov_b32_e32 v62, v59
	v_add_f32_e32 v6, v6, v37
	v_fmac_f32_e32 v62, 0xbf737871, v56
	v_fmac_f32_e32 v59, 0x3f737871, v56
	v_add_f32_e32 v6, v6, v46
	v_fmac_f32_e32 v62, 0x3f167918, v38
	v_fmac_f32_e32 v59, 0xbf167918, v38
	v_mul_u32_u24_e32 v38, 0x154, v94
	v_add_f32_e32 v6, v6, v39
	v_add_f32_e32 v9, v9, v10
	v_add3_u32 v38, 0, v38, v98
	v_add_f32_e32 v9, v9, v8
	ds_write2_b32 v38, v6, v13 offset1:17
	ds_write2_b32 v38, v40, v60 offset0:34 offset1:51
	ds_write_b32 v38, v7 offset:272
	v_mul_u32_u24_e32 v6, 0x154, v95
	v_fma_f32 v29, v64, v88, -v87
	v_add_f32_e32 v9, v9, v11
	v_sub_f32_e32 v63, v2, v3
	v_sub_f32_e32 v64, v5, v4
	v_add3_u32 v40, 0, v6, v99
	v_mul_u32_u24_e32 v6, 0x154, v96
	v_fmac_f32_e32 v27, v65, v92
	v_add_f32_e32 v63, v63, v64
	ds_write2_b32 v40, v9, v41 offset1:17
	ds_write2_b32 v40, v44, v58 offset0:34 offset1:51
	ds_write_b32 v40, v36 offset:272
	v_add3_u32 v41, 0, v6, v100
	v_lshlrev_b32_e32 v36, 2, v97
	v_fmac_f32_e32 v62, 0x3e9e377a, v63
	v_fmac_f32_e32 v59, 0x3e9e377a, v63
	ds_write2_b32 v41, v43, v47 offset1:17
	ds_write2_b32 v41, v62, v59 offset0:34 offset1:51
	ds_write_b32 v41, v45 offset:272
	s_and_saveexec_b64 s[4:5], s[0:1]
	s_cbranch_execz .LBB0_19
; %bb.18:
	v_sub_f32_e32 v6, v29, v28
	v_sub_f32_e32 v7, v30, v34
	v_add_f32_e32 v6, v6, v7
	v_add_f32_e32 v7, v28, v34
	v_fma_f32 v7, -0.5, v7, v26
	v_sub_f32_e32 v9, v23, v25
	v_mov_b32_e32 v13, v7
	v_fmac_f32_e32 v13, 0x3f737871, v9
	v_sub_f32_e32 v43, v20, v27
	v_fmac_f32_e32 v7, 0xbf737871, v9
	v_fmac_f32_e32 v13, 0xbf167918, v43
	;; [unrolled: 1-line block ×5, first 2 shown]
	v_sub_f32_e32 v6, v28, v29
	v_sub_f32_e32 v44, v34, v30
	v_add_f32_e32 v6, v6, v44
	v_add_f32_e32 v44, v29, v30
	v_fma_f32 v44, -0.5, v44, v26
	v_mov_b32_e32 v45, v44
	v_fmac_f32_e32 v45, 0xbf737871, v43
	v_fmac_f32_e32 v44, 0x3f737871, v43
	;; [unrolled: 1-line block ×6, first 2 shown]
	v_add_f32_e32 v6, v26, v28
	v_add_f32_e32 v6, v6, v29
	v_mul_lo_u16_e32 v9, 0x55, v19
	v_add_f32_e32 v6, v6, v30
	v_lshlrev_b32_e32 v9, 2, v9
	v_add_f32_e32 v6, v6, v34
	v_add3_u32 v9, 0, v36, v9
	ds_write2_b32 v9, v6, v44 offset1:17
	ds_write2_b32 v9, v7, v13 offset0:34 offset1:51
	ds_write_b32 v9, v45 offset:272
.LBB0_19:
	s_or_b64 exec, exec, s[4:5]
	v_add_f32_e32 v6, v18, v50
	v_add_f32_e32 v6, v6, v51
	;; [unrolled: 1-line block ×5, first 2 shown]
	v_fma_f32 v44, -0.5, v6, v18
	v_sub_f32_e32 v6, v42, v39
	v_mov_b32_e32 v39, v44
	v_fmac_f32_e32 v39, 0xbf737871, v6
	v_sub_f32_e32 v7, v37, v46
	v_sub_f32_e32 v9, v50, v51
	;; [unrolled: 1-line block ×3, first 2 shown]
	v_fmac_f32_e32 v44, 0x3f737871, v6
	v_fmac_f32_e32 v39, 0xbf167918, v7
	v_add_f32_e32 v9, v9, v13
	v_fmac_f32_e32 v44, 0x3f167918, v7
	v_fmac_f32_e32 v39, 0x3e9e377a, v9
	v_fmac_f32_e32 v44, 0x3e9e377a, v9
	v_add_f32_e32 v9, v50, v61
	v_fmac_f32_e32 v18, -0.5, v9
	v_mov_b32_e32 v37, v18
	v_fmac_f32_e32 v37, 0x3f737871, v7
	v_fmac_f32_e32 v18, 0xbf737871, v7
	;; [unrolled: 1-line block ×4, first 2 shown]
	v_add_f32_e32 v6, v16, v31
	v_add_f32_e32 v6, v6, v32
	;; [unrolled: 1-line block ×5, first 2 shown]
	v_sub_f32_e32 v9, v51, v50
	v_sub_f32_e32 v13, v52, v61
	v_fma_f32 v45, -0.5, v6, v16
	v_add_f32_e32 v9, v9, v13
	v_sub_f32_e32 v6, v12, v11
	v_mov_b32_e32 v46, v45
	v_fmac_f32_e32 v37, 0x3e9e377a, v9
	v_fmac_f32_e32 v18, 0x3e9e377a, v9
	v_fmac_f32_e32 v46, 0xbf737871, v6
	v_sub_f32_e32 v7, v10, v8
	v_sub_f32_e32 v8, v31, v32
	;; [unrolled: 1-line block ×3, first 2 shown]
	v_fmac_f32_e32 v45, 0x3f737871, v6
	v_fmac_f32_e32 v46, 0xbf167918, v7
	v_add_f32_e32 v8, v8, v9
	v_fmac_f32_e32 v45, 0x3f167918, v7
	v_fmac_f32_e32 v46, 0x3e9e377a, v8
	;; [unrolled: 1-line block ×3, first 2 shown]
	v_add_f32_e32 v8, v31, v35
	v_fmac_f32_e32 v16, -0.5, v8
	v_mov_b32_e32 v47, v16
	v_fmac_f32_e32 v47, 0x3f737871, v7
	v_fmac_f32_e32 v16, 0xbf737871, v7
	;; [unrolled: 1-line block ×4, first 2 shown]
	v_add_f32_e32 v6, v17, v14
	v_add_f32_e32 v6, v6, v21
	;; [unrolled: 1-line block ×3, first 2 shown]
	v_sub_f32_e32 v8, v32, v31
	v_add_f32_e32 v31, v6, v24
	v_add_f32_e32 v6, v21, v22
	v_fma_f32 v32, -0.5, v6, v17
	v_sub_f32_e32 v9, v33, v35
	v_sub_f32_e32 v3, v3, v4
	v_mov_b32_e32 v33, v32
	v_fmac_f32_e32 v33, 0xbf737871, v3
	v_sub_f32_e32 v2, v2, v5
	v_sub_f32_e32 v4, v14, v21
	v_sub_f32_e32 v5, v24, v22
	v_fmac_f32_e32 v32, 0x3f737871, v3
	v_fmac_f32_e32 v33, 0xbf167918, v2
	v_add_f32_e32 v4, v4, v5
	v_fmac_f32_e32 v32, 0x3f167918, v2
	v_fmac_f32_e32 v33, 0x3e9e377a, v4
	;; [unrolled: 1-line block ×3, first 2 shown]
	v_add_f32_e32 v4, v14, v24
	v_fmac_f32_e32 v17, -0.5, v4
	v_mov_b32_e32 v35, v17
	v_add_f32_e32 v8, v8, v9
	v_fmac_f32_e32 v35, 0x3f737871, v2
	v_sub_f32_e32 v4, v21, v14
	v_sub_f32_e32 v5, v22, v24
	v_fmac_f32_e32 v17, 0xbf737871, v2
	s_waitcnt lgkmcnt(0)
	s_barrier
	ds_read_b32 v22, v54
	ds_read_b32 v21, v57
	ds_read_b32 v26, v53 offset:5440
	ds_read_b32 v14, v53
	ds_read_b32 v24, v55
	v_add_u32_e32 v2, 0x400, v53
	v_fmac_f32_e32 v47, 0x3e9e377a, v8
	v_fmac_f32_e32 v16, 0x3e9e377a, v8
	;; [unrolled: 1-line block ×3, first 2 shown]
	v_add_f32_e32 v4, v4, v5
	v_fmac_f32_e32 v17, 0x3f167918, v3
	ds_read2_b32 v[8:9], v2 offset0:84 offset1:169
	v_add_u32_e32 v2, 0x600, v53
	v_fmac_f32_e32 v35, 0x3e9e377a, v4
	v_fmac_f32_e32 v17, 0x3e9e377a, v4
	ds_read2_b32 v[4:5], v2 offset0:126 offset1:211
	v_add_u32_e32 v2, 0x800, v53
	v_add_u32_e32 v6, 0xc00, v53
	;; [unrolled: 1-line block ×4, first 2 shown]
	ds_read2_b32 v[2:3], v2 offset0:168 offset1:253
	ds_read2_b32 v[6:7], v6 offset0:82 offset1:167
	;; [unrolled: 1-line block ×4, first 2 shown]
	s_waitcnt lgkmcnt(0)
	s_barrier
	ds_write2_b32 v38, v43, v39 offset1:17
	ds_write2_b32 v38, v37, v18 offset0:34 offset1:51
	ds_write_b32 v38, v44 offset:272
	ds_write2_b32 v40, v42, v46 offset1:17
	ds_write2_b32 v40, v47, v16 offset0:34 offset1:51
	ds_write_b32 v40, v45 offset:272
	;; [unrolled: 3-line block ×3, first 2 shown]
	s_and_saveexec_b64 s[4:5], s[0:1]
	s_cbranch_execz .LBB0_21
; %bb.20:
	v_add_f32_e32 v17, v23, v25
	v_fma_f32 v17, -0.5, v17, v15
	v_sub_f32_e32 v18, v28, v34
	v_mov_b32_e32 v28, v17
	v_fmac_f32_e32 v28, 0xbf737871, v18
	v_sub_f32_e32 v29, v29, v30
	v_sub_f32_e32 v30, v20, v23
	;; [unrolled: 1-line block ×3, first 2 shown]
	v_fmac_f32_e32 v17, 0x3f737871, v18
	v_fmac_f32_e32 v28, 0xbf167918, v29
	v_add_f32_e32 v30, v30, v31
	v_fmac_f32_e32 v17, 0x3f167918, v29
	v_fmac_f32_e32 v28, 0x3e9e377a, v30
	;; [unrolled: 1-line block ×3, first 2 shown]
	v_add_f32_e32 v30, v20, v27
	v_add_f32_e32 v16, v15, v20
	v_fmac_f32_e32 v15, -0.5, v30
	v_mov_b32_e32 v30, v15
	v_fmac_f32_e32 v30, 0x3f737871, v29
	v_fmac_f32_e32 v15, 0xbf737871, v29
	v_add_f32_e32 v16, v16, v23
	v_fmac_f32_e32 v30, 0xbf167918, v18
	v_fmac_f32_e32 v15, 0x3f167918, v18
	v_mul_lo_u16_e32 v18, 0x55, v19
	v_add_f32_e32 v16, v16, v25
	v_sub_f32_e32 v20, v23, v20
	v_sub_f32_e32 v23, v25, v27
	v_lshlrev_b32_e32 v18, 2, v18
	v_add_f32_e32 v16, v16, v27
	v_add_f32_e32 v20, v20, v23
	v_add3_u32 v18, 0, v36, v18
	v_fmac_f32_e32 v30, 0x3e9e377a, v20
	v_fmac_f32_e32 v15, 0x3e9e377a, v20
	ds_write2_b32 v18, v16, v28 offset1:17
	ds_write2_b32 v18, v30, v15 offset0:34 offset1:51
	ds_write_b32 v18, v17 offset:272
.LBB0_21:
	s_or_b64 exec, exec, s[4:5]
	s_waitcnt lgkmcnt(0)
	s_barrier
	s_and_saveexec_b64 s[0:1], vcc
	s_cbranch_execz .LBB0_23
; %bb.22:
	v_lshlrev_b32_e32 v15, 4, v49
	v_mov_b32_e32 v16, 0
	v_lshlrev_b64 v[15:16], 3, v[15:16]
	v_mov_b32_e32 v17, s9
	v_add_co_u32_e32 v31, vcc, s8, v15
	v_addc_co_u32_e32 v32, vcc, v17, v16, vcc
	global_load_dwordx4 v[16:19], v[31:32], off offset:544
	global_load_dwordx4 v[27:30], v[31:32], off offset:656
	;; [unrolled: 1-line block ×6, first 2 shown]
	v_add_u32_e32 v33, 0x1000, v53
	ds_read_b32 v20, v57
	ds_read_b32 v23, v53 offset:5440
	ds_read_b32 v15, v53
	ds_read_b32 v25, v54
	;; [unrolled: 1-line block ×3, first 2 shown]
	v_add_u32_e32 v34, 0x400, v53
	v_add_u32_e32 v35, 0xe00, v53
	ds_read2_b32 v[54:55], v33 offset0:166 offset1:251
	ds_read2_b32 v[80:81], v34 offset0:84 offset1:169
	;; [unrolled: 1-line block ×3, first 2 shown]
	global_load_dwordx4 v[72:75], v[31:32], off offset:592
	global_load_dwordx4 v[76:79], v[31:32], off offset:608
	s_mov_b32 s0, 0xbf7ba420
	s_mov_b32 s1, 0x3f6eb680
	;; [unrolled: 1-line block ×7, first 2 shown]
	s_waitcnt vmcnt(7) lgkmcnt(4)
	v_mul_f32_e32 v31, v25, v17
	s_waitcnt vmcnt(6)
	v_mul_f32_e32 v35, v23, v30
	v_mul_f32_e32 v32, v26, v30
	;; [unrolled: 1-line block ×3, first 2 shown]
	s_waitcnt lgkmcnt(3)
	v_mul_f32_e32 v17, v40, v19
	s_waitcnt lgkmcnt(2)
	v_mul_f32_e32 v30, v55, v28
	v_fma_f32 v43, v22, v16, -v31
	v_fma_f32 v35, v26, v29, -v35
	v_mul_f32_e32 v33, v13, v28
	v_mul_f32_e32 v39, v24, v19
	s_waitcnt vmcnt(5)
	v_mul_f32_e32 v19, v20, v50
	s_waitcnt vmcnt(4)
	v_mul_f32_e32 v28, v54, v61
	v_mul_f32_e32 v34, v12, v61
	s_waitcnt lgkmcnt(0)
	v_mul_f32_e32 v61, v57, v59
	v_mul_f32_e32 v36, v11, v59
	;; [unrolled: 1-line block ×3, first 2 shown]
	s_waitcnt vmcnt(2)
	v_mul_f32_e32 v59, v56, v71
	v_mul_f32_e32 v46, v10, v71
	v_fma_f32 v45, v24, v18, -v17
	v_fma_f32 v38, v13, v27, -v30
	v_sub_f32_e32 v71, v43, v35
	v_mul_f32_e32 v44, v80, v52
	v_fmac_f32_e32 v32, v29, v23
	v_fmac_f32_e32 v37, v16, v25
	;; [unrolled: 1-line block ×3, first 2 shown]
	v_fma_f32 v47, v21, v49, -v19
	v_fma_f32 v40, v12, v60, -v28
	v_fmac_f32_e32 v36, v58, v57
	v_fmac_f32_e32 v42, v51, v80
	v_sub_f32_e32 v80, v45, v38
	v_mul_f32_e32 v57, 0xbe3c28d5, v71
	v_mul_f32_e32 v41, v21, v50
	v_fmac_f32_e32 v33, v27, v55
	v_fma_f32 v50, v8, v51, -v44
	v_fma_f32 v44, v11, v58, -v61
	v_fmac_f32_e32 v46, v70, v56
	v_add_f32_e32 v16, v37, v32
	v_sub_f32_e32 v82, v47, v40
	v_mul_f32_e32 v56, 0x3eb8f4ab, v80
	v_mov_b32_e32 v8, v57
	v_fmac_f32_e32 v34, v60, v54
	v_fmac_f32_e32 v41, v49, v20
	v_fma_f32 v49, v10, v70, -v59
	v_add_f32_e32 v17, v39, v33
	v_sub_f32_e32 v83, v50, v44
	v_mul_f32_e32 v55, 0xbf06c442, v82
	v_mov_b32_e32 v10, v56
	v_fmac_f32_e32 v8, 0xbf7ba420, v16
	v_add_f32_e32 v18, v41, v34
	v_mul_f32_e32 v54, 0x3f2c7751, v83
	v_mov_b32_e32 v11, v55
	v_fmac_f32_e32 v10, 0x3f6eb680, v17
	v_add_f32_e32 v8, v15, v8
	v_add_f32_e32 v19, v42, v36
	v_mov_b32_e32 v12, v54
	v_fmac_f32_e32 v11, 0xbf59a7d5, v18
	v_add_f32_e32 v8, v8, v10
	v_fmac_f32_e32 v12, 0x3f3d2fb0, v19
	v_add_f32_e32 v8, v8, v11
	v_mul_f32_e32 v52, v81, v64
	v_add_f32_e32 v12, v8, v12
	v_add_u32_e32 v8, 0x600, v53
	v_fma_f32 v51, v9, v63, -v52
	v_mul_f32_e32 v61, v9, v64
	ds_read2_b32 v[8:9], v8 offset0:126 offset1:211
	v_add_u32_e32 v10, 0xc00, v53
	v_sub_f32_e32 v67, v51, v49
	ds_read2_b32 v[10:11], v10 offset0:82 offset1:167
	v_mul_f32_e32 v52, 0xbf4c4adb, v67
	v_fmac_f32_e32 v61, v63, v81
	v_add_f32_e32 v20, v61, v46
	v_mov_b32_e32 v13, v52
	v_fmac_f32_e32 v13, 0xbf1a4643, v20
	v_add_f32_e32 v12, v12, v13
	s_waitcnt lgkmcnt(1)
	v_mul_f32_e32 v13, v8, v66
	v_fma_f32 v62, v4, v65, -v13
	s_waitcnt lgkmcnt(0)
	v_mul_f32_e32 v13, v11, v69
	v_fma_f32 v59, v7, v68, -v13
	v_sub_f32_e32 v81, v62, v59
	v_mul_f32_e32 v64, v7, v69
	v_mul_f32_e32 v66, v4, v66
	;; [unrolled: 1-line block ×3, first 2 shown]
	v_fmac_f32_e32 v64, v68, v11
	v_fmac_f32_e32 v66, v65, v8
	v_add_f32_e32 v21, v66, v64
	v_mov_b32_e32 v4, v58
	v_fmac_f32_e32 v4, 0x3ee437d1, v21
	v_add_f32_e32 v7, v12, v4
	s_waitcnt vmcnt(1)
	v_mul_f32_e32 v4, v9, v73
	v_fma_f32 v65, v5, v72, -v4
	s_waitcnt vmcnt(0)
	v_mul_f32_e32 v4, v10, v79
	v_fma_f32 v63, v6, v78, -v4
	v_add_u32_e32 v4, 0x800, v53
	v_mul_f32_e32 v73, v5, v73
	ds_read2_b32 v[4:5], v4 offset0:168 offset1:253
	v_sub_f32_e32 v84, v65, v63
	v_mul_f32_e32 v79, v6, v79
	v_mul_f32_e32 v60, 0xbf763a35, v84
	v_fmac_f32_e32 v79, v78, v10
	v_fmac_f32_e32 v73, v72, v9
	v_add_f32_e32 v22, v73, v79
	v_mov_b32_e32 v6, v60
	v_fmac_f32_e32 v6, 0xbe8c1d8e, v22
	v_add_f32_e32 v6, v7, v6
	s_waitcnt lgkmcnt(0)
	v_mul_f32_e32 v7, v4, v75
	v_mul_f32_e32 v75, v2, v75
	v_sub_f32_e32 v72, v37, v32
	v_fma_f32 v78, v2, v74, -v7
	v_mul_f32_e32 v7, v5, v77
	v_mul_f32_e32 v77, v3, v77
	v_fmac_f32_e32 v75, v74, v4
	v_add_f32_e32 v23, v43, v35
	v_mul_f32_e32 v53, 0xbe3c28d5, v72
	v_sub_f32_e32 v74, v39, v33
	v_fma_f32 v85, v3, v76, -v7
	v_fmac_f32_e32 v77, v76, v5
	v_fma_f32 v2, v23, s0, -v53
	v_add_f32_e32 v25, v45, v38
	v_mul_f32_e32 v68, 0x3eb8f4ab, v74
	v_sub_f32_e32 v76, v41, v34
	v_add_f32_e32 v2, v14, v2
	v_fma_f32 v3, v25, s1, -v68
	v_add_f32_e32 v26, v47, v40
	v_mul_f32_e32 v86, 0xbf06c442, v76
	v_sub_f32_e32 v87, v42, v36
	v_add_f32_e32 v2, v2, v3
	v_fma_f32 v3, v26, s4, -v86
	v_add_f32_e32 v28, v50, v44
	v_mul_f32_e32 v88, 0x3f2c7751, v87
	v_sub_f32_e32 v89, v61, v46
	v_add_f32_e32 v2, v2, v3
	v_fma_f32 v3, v28, s5, -v88
	v_add_f32_e32 v29, v51, v49
	v_mul_f32_e32 v90, 0xbf4c4adb, v89
	v_sub_f32_e32 v91, v66, v64
	v_add_f32_e32 v2, v2, v3
	v_fma_f32 v3, v29, s6, -v90
	v_add_f32_e32 v24, v62, v59
	v_mul_f32_e32 v92, 0x3f65296c, v91
	v_sub_f32_e32 v93, v73, v79
	v_add_f32_e32 v2, v2, v3
	v_fma_f32 v3, v24, s7, -v92
	v_add_f32_e32 v27, v65, v63
	v_mul_f32_e32 v94, 0xbf763a35, v93
	v_sub_f32_e32 v97, v75, v77
	v_add_f32_e32 v2, v2, v3
	v_fma_f32 v3, v27, s8, -v94
	v_add_f32_e32 v30, v78, v85
	v_mul_f32_e32 v98, 0x3f7ee86f, v97
	v_add_f32_e32 v2, v2, v3
	v_fma_f32 v4, v30, s9, -v98
	v_mul_f32_e32 v99, 0xbf06c442, v71
	v_add_f32_e32 v2, v2, v4
	v_mov_b32_e32 v4, v99
	v_mul_f32_e32 v100, 0x3f65296c, v80
	v_fmac_f32_e32 v4, 0xbf59a7d5, v16
	v_mov_b32_e32 v5, v100
	v_add_f32_e32 v4, v15, v4
	v_fmac_f32_e32 v5, 0x3ee437d1, v17
	v_mul_f32_e32 v101, 0xbf7ee86f, v82
	v_add_f32_e32 v4, v4, v5
	v_mov_b32_e32 v5, v101
	v_fmac_f32_e32 v5, 0x3dbcf732, v18
	v_mul_f32_e32 v102, 0x3f4c4adb, v83
	v_add_f32_e32 v4, v4, v5
	v_mov_b32_e32 v5, v102
	;; [unrolled: 4-line block ×4, first 2 shown]
	v_sub_f32_e32 v95, v78, v85
	v_fmac_f32_e32 v5, 0xbf7ba420, v21
	v_mul_f32_e32 v105, 0x3f2c7751, v84
	v_mul_f32_e32 v96, 0x3f7ee86f, v95
	v_add_f32_e32 v4, v4, v5
	v_mov_b32_e32 v5, v105
	v_add_f32_e32 v31, v75, v77
	v_mov_b32_e32 v3, v96
	v_fmac_f32_e32 v5, 0x3f3d2fb0, v22
	v_mul_f32_e32 v106, 0xbf06c442, v72
	v_fmac_f32_e32 v3, 0x3dbcf732, v31
	v_add_f32_e32 v4, v4, v5
	v_fma_f32 v5, v23, s4, -v106
	v_mul_f32_e32 v107, 0x3f65296c, v74
	v_add_f32_e32 v3, v6, v3
	v_add_f32_e32 v5, v14, v5
	v_fma_f32 v6, v25, s7, -v107
	v_mul_f32_e32 v108, 0xbf7ee86f, v76
	v_add_f32_e32 v5, v5, v6
	v_fma_f32 v6, v26, s9, -v108
	v_mul_f32_e32 v109, 0x3f4c4adb, v87
	;; [unrolled: 3-line block ×6, first 2 shown]
	v_add_f32_e32 v6, v5, v6
	v_mov_b32_e32 v5, v113
	v_fmac_f32_e32 v5, 0xbe8c1d8e, v31
	v_mul_f32_e32 v114, 0xbf763a35, v97
	v_add_f32_e32 v5, v4, v5
	v_fma_f32 v4, v30, s8, -v114
	v_mul_f32_e32 v115, 0xbf4c4adb, v71
	v_add_f32_e32 v4, v6, v4
	v_mov_b32_e32 v6, v115
	v_mul_f32_e32 v116, 0x3f763a35, v80
	v_fmac_f32_e32 v6, 0xbf1a4643, v16
	v_mov_b32_e32 v7, v116
	v_add_f32_e32 v6, v15, v6
	v_fmac_f32_e32 v7, 0xbe8c1d8e, v17
	v_mul_f32_e32 v117, 0xbeb8f4ab, v82
	v_add_f32_e32 v6, v6, v7
	v_mov_b32_e32 v7, v117
	v_fmac_f32_e32 v7, 0x3f6eb680, v18
	v_mul_f32_e32 v118, 0xbf06c442, v83
	v_add_f32_e32 v6, v6, v7
	v_mov_b32_e32 v7, v118
	;; [unrolled: 4-line block ×5, first 2 shown]
	v_fmac_f32_e32 v7, 0xbf7ba420, v22
	v_mul_f32_e32 v122, 0xbf4c4adb, v72
	v_add_f32_e32 v6, v6, v7
	v_fma_f32 v7, v23, s6, -v122
	v_mul_f32_e32 v123, 0x3f763a35, v74
	v_add_f32_e32 v7, v14, v7
	v_fma_f32 v8, v25, s8, -v123
	;; [unrolled: 3-line block ×7, first 2 shown]
	v_mul_f32_e32 v129, 0x3f65296c, v95
	v_add_f32_e32 v8, v7, v8
	v_mov_b32_e32 v7, v129
	v_fmac_f32_e32 v7, 0x3ee437d1, v31
	v_mul_f32_e32 v130, 0x3f65296c, v97
	v_add_f32_e32 v7, v6, v7
	v_fma_f32 v6, v30, s7, -v130
	v_mul_f32_e32 v131, 0xbf763a35, v71
	v_add_f32_e32 v37, v37, v15
	v_add_f32_e32 v6, v8, v6
	v_mov_b32_e32 v8, v131
	v_mul_f32_e32 v132, 0x3f06c442, v80
	v_add_f32_e32 v37, v37, v39
	v_fmac_f32_e32 v8, 0xbe8c1d8e, v16
	v_mov_b32_e32 v9, v132
	v_add_f32_e32 v37, v37, v41
	v_add_f32_e32 v8, v15, v8
	v_fmac_f32_e32 v9, 0xbf59a7d5, v17
	v_mul_f32_e32 v133, 0x3f2c7751, v82
	v_add_f32_e32 v37, v37, v42
	v_add_f32_e32 v8, v8, v9
	v_mov_b32_e32 v9, v133
	v_add_f32_e32 v37, v37, v61
	v_fmac_f32_e32 v9, 0x3f3d2fb0, v18
	v_mul_f32_e32 v134, 0xbf65296c, v83
	v_add_f32_e32 v37, v37, v66
	v_add_f32_e32 v8, v8, v9
	v_mov_b32_e32 v9, v134
	;; [unrolled: 6-line block ×5, first 2 shown]
	v_add_f32_e32 v36, v36, v37
	v_fmac_f32_e32 v9, 0x3f6eb680, v22
	v_mul_f32_e32 v138, 0xbf763a35, v72
	v_add_f32_e32 v34, v34, v36
	v_add_f32_e32 v8, v8, v9
	v_fma_f32 v9, v23, s8, -v138
	v_mul_f32_e32 v139, 0x3f06c442, v74
	v_add_f32_e32 v33, v33, v34
	v_add_f32_e32 v34, v14, v43
	;; [unrolled: 1-line block ×3, first 2 shown]
	v_fma_f32 v10, v25, s4, -v139
	v_mul_f32_e32 v140, 0x3f2c7751, v76
	v_add_f32_e32 v34, v34, v45
	v_add_f32_e32 v9, v9, v10
	v_fma_f32 v10, v26, s5, -v140
	v_mul_f32_e32 v141, 0xbf65296c, v87
	v_add_f32_e32 v34, v34, v47
	v_add_f32_e32 v9, v9, v10
	;; [unrolled: 4-line block ×6, first 2 shown]
	v_mov_b32_e32 v9, v145
	v_add_f32_e32 v34, v34, v78
	v_fmac_f32_e32 v9, 0xbf1a4643, v31
	v_mul_f32_e32 v146, 0xbf4c4adb, v97
	v_add_f32_e32 v34, v34, v85
	v_add_f32_e32 v9, v8, v9
	v_fma_f32 v8, v30, s6, -v146
	v_mul_f32_e32 v147, 0xbf7ee86f, v71
	v_add_f32_e32 v34, v63, v34
	v_add_f32_e32 v8, v10, v8
	v_mov_b32_e32 v10, v147
	v_mul_f32_e32 v148, 0xbe3c28d5, v80
	v_add_f32_e32 v34, v59, v34
	v_fmac_f32_e32 v10, 0x3dbcf732, v16
	v_mov_b32_e32 v11, v148
	v_add_f32_e32 v34, v49, v34
	v_add_f32_e32 v10, v15, v10
	v_fmac_f32_e32 v11, 0xbf7ba420, v17
	v_mul_f32_e32 v149, 0x3f763a35, v82
	v_add_f32_e32 v34, v44, v34
	v_add_f32_e32 v10, v10, v11
	v_mov_b32_e32 v11, v149
	v_add_f32_e32 v34, v40, v34
	v_fmac_f32_e32 v11, 0xbe8c1d8e, v18
	v_mul_f32_e32 v150, 0x3eb8f4ab, v83
	v_add_f32_e32 v34, v38, v34
	v_add_f32_e32 v10, v10, v11
	v_mov_b32_e32 v11, v150
	v_add_f32_e32 v33, v32, v33
	v_add_f32_e32 v32, v35, v34
	v_fma_f32 v34, v16, s0, -v57
	v_fmac_f32_e32 v11, 0x3f6eb680, v19
	v_mul_f32_e32 v151, 0xbf65296c, v67
	v_add_f32_e32 v34, v15, v34
	v_fma_f32 v35, v17, s1, -v56
	v_add_f32_e32 v10, v10, v11
	v_mov_b32_e32 v11, v151
	v_add_f32_e32 v34, v34, v35
	v_fma_f32 v35, v18, s4, -v55
	v_fmac_f32_e32 v11, 0x3ee437d1, v20
	v_mul_f32_e32 v152, 0xbf06c442, v81
	v_add_f32_e32 v34, v34, v35
	v_fma_f32 v35, v19, s5, -v54
	v_add_f32_e32 v10, v10, v11
	v_mov_b32_e32 v11, v152
	;; [unrolled: 8-line block ×3, first 2 shown]
	v_add_f32_e32 v34, v34, v35
	v_fma_f32 v35, v22, s8, -v60
	v_fmac_f32_e32 v53, 0xbf7ba420, v23
	v_fmac_f32_e32 v11, 0xbf1a4643, v22
	v_mul_f32_e32 v154, 0xbf7ee86f, v72
	v_add_f32_e32 v34, v34, v35
	v_add_f32_e32 v35, v14, v53
	v_fmac_f32_e32 v68, 0x3f6eb680, v25
	v_add_f32_e32 v10, v10, v11
	v_fma_f32 v11, v23, s9, -v154
	v_mul_f32_e32 v155, 0xbe3c28d5, v74
	v_add_f32_e32 v35, v35, v68
	v_fmac_f32_e32 v86, 0xbf59a7d5, v26
	v_add_f32_e32 v11, v14, v11
	v_fma_f32 v12, v25, s0, -v155
	v_mul_f32_e32 v156, 0x3f763a35, v76
	;; [unrolled: 5-line block ×6, first 2 shown]
	v_add_f32_e32 v36, v35, v94
	v_fma_f32 v35, v31, s9, -v96
	v_fmac_f32_e32 v98, 0x3dbcf732, v30
	v_add_f32_e32 v11, v11, v12
	v_fma_f32 v12, v27, s6, -v160
	v_mul_f32_e32 v161, 0x3f2c7751, v95
	v_add_f32_e32 v35, v34, v35
	v_add_f32_e32 v34, v36, v98
	v_fma_f32 v36, v16, s4, -v99
	v_add_f32_e32 v12, v11, v12
	v_mov_b32_e32 v11, v161
	v_add_f32_e32 v36, v15, v36
	v_fma_f32 v37, v17, s7, -v100
	v_fmac_f32_e32 v11, 0x3f3d2fb0, v31
	v_mul_f32_e32 v162, 0x3f2c7751, v97
	v_add_f32_e32 v36, v36, v37
	v_fma_f32 v37, v18, s9, -v101
	v_add_f32_e32 v11, v10, v11
	v_fma_f32 v10, v30, s5, -v162
	v_mul_f32_e32 v163, 0xbf65296c, v71
	v_add_f32_e32 v36, v36, v37
	v_fma_f32 v37, v19, s6, -v102
	v_add_f32_e32 v10, v12, v10
	v_mov_b32_e32 v12, v163
	v_mul_f32_e32 v164, 0xbf4c4adb, v80
	v_add_f32_e32 v36, v36, v37
	v_fma_f32 v37, v20, s1, -v103
	v_fmac_f32_e32 v12, 0x3ee437d1, v16
	v_mov_b32_e32 v13, v164
	v_add_f32_e32 v36, v36, v37
	v_fma_f32 v37, v21, s0, -v104
	v_add_f32_e32 v12, v15, v12
	v_fmac_f32_e32 v13, 0xbf1a4643, v17
	v_mul_f32_e32 v165, 0x3e3c28d5, v82
	v_add_f32_e32 v36, v36, v37
	v_fma_f32 v37, v22, s5, -v105
	v_fmac_f32_e32 v106, 0xbf59a7d5, v23
	v_add_f32_e32 v12, v12, v13
	v_mov_b32_e32 v13, v165
	v_add_f32_e32 v36, v36, v37
	v_add_f32_e32 v37, v14, v106
	v_fmac_f32_e32 v107, 0x3ee437d1, v25
	v_fmac_f32_e32 v13, 0xbf7ba420, v18
	v_mul_f32_e32 v166, 0x3f763a35, v83
	v_add_f32_e32 v37, v37, v107
	v_fmac_f32_e32 v108, 0x3dbcf732, v26
	v_add_f32_e32 v12, v12, v13
	v_mov_b32_e32 v13, v166
	v_add_f32_e32 v37, v37, v108
	v_fmac_f32_e32 v109, 0xbf1a4643, v28
	v_fmac_f32_e32 v13, 0xbe8c1d8e, v19
	v_mul_f32_e32 v167, 0x3f2c7751, v67
	v_add_f32_e32 v37, v37, v109
	v_fmac_f32_e32 v110, 0x3f6eb680, v29
	v_add_f32_e32 v12, v12, v13
	v_mov_b32_e32 v13, v167
	;; [unrolled: 8-line block ×3, first 2 shown]
	v_add_f32_e32 v38, v37, v112
	v_fma_f32 v37, v31, s8, -v113
	v_fmac_f32_e32 v114, 0xbe8c1d8e, v30
	v_fmac_f32_e32 v13, 0x3f6eb680, v21
	v_mul_f32_e32 v169, 0xbf7ee86f, v84
	v_add_f32_e32 v37, v36, v37
	v_add_f32_e32 v36, v38, v114
	v_fma_f32 v38, v16, s6, -v115
	v_add_f32_e32 v12, v12, v13
	v_mov_b32_e32 v13, v169
	v_add_f32_e32 v38, v15, v38
	v_fma_f32 v39, v17, s8, -v116
	v_fmac_f32_e32 v13, 0x3dbcf732, v22
	v_mul_f32_e32 v170, 0xbf65296c, v72
	v_add_f32_e32 v38, v38, v39
	v_fma_f32 v39, v18, s1, -v117
	v_add_f32_e32 v12, v12, v13
	v_fma_f32 v13, v23, s7, -v170
	v_mul_f32_e32 v171, 0xbf4c4adb, v74
	v_add_f32_e32 v38, v38, v39
	v_fma_f32 v39, v19, s4, -v118
	v_add_f32_e32 v13, v14, v13
	v_fma_f32 v69, v25, s6, -v171
	;; [unrolled: 5-line block ×4, first 2 shown]
	v_mul_f32_e32 v174, 0x3f2c7751, v89
	v_add_f32_e32 v38, v38, v39
	v_fma_f32 v39, v22, s0, -v121
	v_fmac_f32_e32 v122, 0xbf1a4643, v23
	v_add_f32_e32 v13, v13, v69
	v_fma_f32 v69, v29, s5, -v174
	v_mul_f32_e32 v175, 0xbeb8f4ab, v91
	v_add_f32_e32 v38, v38, v39
	v_add_f32_e32 v39, v14, v122
	v_fmac_f32_e32 v123, 0xbe8c1d8e, v25
	v_add_f32_e32 v13, v13, v69
	v_fma_f32 v69, v24, s1, -v175
	v_mul_f32_e32 v176, 0xbf7ee86f, v93
	v_add_f32_e32 v39, v39, v123
	v_fmac_f32_e32 v124, 0x3f6eb680, v26
	v_add_f32_e32 v13, v13, v69
	v_fma_f32 v69, v27, s9, -v176
	v_mul_f32_e32 v177, 0xbf06c442, v95
	v_add_f32_e32 v39, v39, v124
	v_fmac_f32_e32 v125, 0xbf59a7d5, v28
	v_add_f32_e32 v69, v13, v69
	v_mov_b32_e32 v13, v177
	v_add_f32_e32 v39, v39, v125
	v_fmac_f32_e32 v126, 0x3dbcf732, v29
	v_fmac_f32_e32 v13, 0xbf59a7d5, v31
	v_mul_f32_e32 v178, 0xbf06c442, v97
	v_add_f32_e32 v39, v39, v126
	v_fmac_f32_e32 v127, 0x3f3d2fb0, v24
	v_add_f32_e32 v13, v12, v13
	v_fma_f32 v12, v30, s4, -v178
	v_mul_f32_e32 v179, 0xbf2c7751, v71
	v_add_f32_e32 v39, v39, v127
	v_fmac_f32_e32 v128, 0xbf7ba420, v27
	v_add_f32_e32 v12, v69, v12
	v_mov_b32_e32 v69, v179
	v_mul_f32_e32 v180, 0xbf7ee86f, v80
	v_add_f32_e32 v40, v39, v128
	v_fma_f32 v39, v31, s7, -v129
	v_fmac_f32_e32 v130, 0x3ee437d1, v30
	v_fmac_f32_e32 v69, 0x3f3d2fb0, v16
	v_mov_b32_e32 v70, v180
	v_add_f32_e32 v39, v38, v39
	v_add_f32_e32 v38, v40, v130
	v_fma_f32 v40, v16, s8, -v131
	v_add_f32_e32 v69, v15, v69
	v_fmac_f32_e32 v70, 0x3dbcf732, v17
	v_mul_f32_e32 v181, 0xbf4c4adb, v82
	v_add_f32_e32 v40, v15, v40
	v_fma_f32 v41, v17, s4, -v132
	v_add_f32_e32 v69, v69, v70
	v_mov_b32_e32 v70, v181
	v_add_f32_e32 v40, v40, v41
	v_fma_f32 v41, v18, s5, -v133
	v_fmac_f32_e32 v70, 0xbf1a4643, v18
	v_mul_f32_e32 v182, 0xbe3c28d5, v83
	v_add_f32_e32 v40, v40, v41
	v_fma_f32 v41, v19, s7, -v134
	v_add_f32_e32 v69, v69, v70
	v_mov_b32_e32 v70, v182
	v_add_f32_e32 v40, v40, v41
	v_fma_f32 v41, v20, s0, -v135
	;; [unrolled: 8-line block ×3, first 2 shown]
	v_fmac_f32_e32 v138, 0xbe8c1d8e, v23
	v_fmac_f32_e32 v70, 0xbf59a7d5, v20
	v_mul_f32_e32 v184, 0x3f763a35, v81
	v_add_f32_e32 v40, v40, v41
	v_add_f32_e32 v41, v14, v138
	v_fmac_f32_e32 v139, 0xbf59a7d5, v25
	v_add_f32_e32 v69, v69, v70
	v_mov_b32_e32 v70, v184
	v_add_f32_e32 v41, v41, v139
	v_fmac_f32_e32 v140, 0x3f3d2fb0, v26
	v_fmac_f32_e32 v70, 0xbe8c1d8e, v21
	v_mul_f32_e32 v185, 0x3f65296c, v84
	v_add_f32_e32 v41, v41, v140
	v_fmac_f32_e32 v141, 0x3ee437d1, v28
	v_add_f32_e32 v69, v69, v70
	v_mov_b32_e32 v70, v185
	v_add_f32_e32 v41, v41, v141
	v_fmac_f32_e32 v142, 0xbf7ba420, v29
	v_fmac_f32_e32 v70, 0x3ee437d1, v22
	v_mul_f32_e32 v186, 0xbf2c7751, v72
	v_add_f32_e32 v41, v41, v142
	v_fmac_f32_e32 v143, 0x3dbcf732, v24
	v_add_f32_e32 v69, v69, v70
	v_fma_f32 v70, v23, s5, -v186
	v_mul_f32_e32 v187, 0xbf7ee86f, v74
	v_add_f32_e32 v41, v41, v143
	v_fmac_f32_e32 v144, 0x3f6eb680, v27
	v_add_f32_e32 v70, v14, v70
	v_fma_f32 v188, v25, s9, -v187
	v_add_f32_e32 v42, v41, v144
	v_fma_f32 v41, v31, s6, -v145
	v_fmac_f32_e32 v146, 0xbf1a4643, v30
	v_add_f32_e32 v70, v70, v188
	v_mul_f32_e32 v188, 0xbf4c4adb, v76
	v_add_f32_e32 v41, v40, v41
	v_add_f32_e32 v40, v42, v146
	v_fma_f32 v42, v16, s9, -v147
	v_fma_f32 v189, v26, s6, -v188
	v_add_f32_e32 v42, v15, v42
	v_fma_f32 v43, v17, s0, -v148
	v_add_f32_e32 v70, v70, v189
	v_mul_f32_e32 v189, 0xbe3c28d5, v87
	v_add_f32_e32 v42, v42, v43
	v_fma_f32 v43, v18, s8, -v149
	v_fma_f32 v190, v28, s0, -v189
	v_add_f32_e32 v42, v42, v43
	v_fma_f32 v43, v19, s1, -v150
	v_add_f32_e32 v70, v70, v190
	v_mul_f32_e32 v190, 0x3f06c442, v89
	v_add_f32_e32 v42, v42, v43
	v_fma_f32 v43, v20, s7, -v151
	v_fma_f32 v191, v29, s4, -v190
	v_add_f32_e32 v42, v42, v43
	v_fma_f32 v43, v21, s4, -v152
	v_add_f32_e32 v70, v70, v191
	v_mul_f32_e32 v191, 0x3f763a35, v91
	v_add_f32_e32 v42, v42, v43
	v_fma_f32 v43, v22, s6, -v153
	v_fmac_f32_e32 v154, 0x3dbcf732, v23
	v_fma_f32 v192, v24, s8, -v191
	v_add_f32_e32 v42, v42, v43
	v_add_f32_e32 v43, v14, v154
	v_fmac_f32_e32 v155, 0xbf7ba420, v25
	v_add_f32_e32 v70, v70, v192
	v_mul_f32_e32 v192, 0x3f65296c, v93
	v_add_f32_e32 v43, v43, v155
	v_fmac_f32_e32 v156, 0xbe8c1d8e, v26
	v_fma_f32 v193, v27, s7, -v192
	v_mul_f32_e32 v194, 0x3eb8f4ab, v95
	v_add_f32_e32 v43, v43, v156
	v_fmac_f32_e32 v157, 0x3f6eb680, v28
	v_add_f32_e32 v193, v70, v193
	v_mov_b32_e32 v70, v194
	v_add_f32_e32 v43, v43, v157
	v_fmac_f32_e32 v158, 0x3ee437d1, v29
	v_fmac_f32_e32 v70, 0x3f6eb680, v31
	v_mul_f32_e32 v195, 0x3eb8f4ab, v97
	v_add_f32_e32 v43, v43, v158
	v_fmac_f32_e32 v159, 0xbf59a7d5, v24
	v_add_f32_e32 v70, v69, v70
	v_fma_f32 v69, v30, s1, -v195
	v_add_f32_e32 v43, v43, v159
	v_fmac_f32_e32 v160, 0xbf1a4643, v27
	v_add_f32_e32 v69, v193, v69
	v_mul_f32_e32 v193, 0xbeb8f4ab, v71
	v_add_f32_e32 v44, v43, v160
	v_fma_f32 v43, v31, s5, -v161
	v_fmac_f32_e32 v162, 0x3f3d2fb0, v30
	v_mov_b32_e32 v71, v193
	v_mul_f32_e32 v80, 0xbf2c7751, v80
	v_add_f32_e32 v43, v42, v43
	v_add_f32_e32 v42, v44, v162
	v_fma_f32 v44, v16, s7, -v163
	v_fmac_f32_e32 v71, 0x3f6eb680, v16
	v_mov_b32_e32 v196, v80
	v_add_f32_e32 v44, v15, v44
	v_fma_f32 v45, v17, s6, -v164
	v_add_f32_e32 v71, v15, v71
	v_fmac_f32_e32 v196, 0x3f3d2fb0, v17
	v_mul_f32_e32 v82, 0xbf65296c, v82
	v_add_f32_e32 v44, v44, v45
	v_fma_f32 v45, v18, s0, -v165
	v_add_f32_e32 v71, v71, v196
	v_mov_b32_e32 v196, v82
	v_add_f32_e32 v44, v44, v45
	v_fma_f32 v45, v19, s8, -v166
	v_fmac_f32_e32 v196, 0x3ee437d1, v18
	v_mul_f32_e32 v83, 0xbf7ee86f, v83
	v_add_f32_e32 v44, v44, v45
	v_fma_f32 v45, v20, s5, -v167
	v_add_f32_e32 v71, v71, v196
	v_mov_b32_e32 v196, v83
	v_add_f32_e32 v44, v44, v45
	v_fma_f32 v45, v21, s1, -v168
	v_fmac_f32_e32 v196, 0x3dbcf732, v19
	v_mul_f32_e32 v67, 0xbf763a35, v67
	v_add_f32_e32 v44, v44, v45
	v_fma_f32 v45, v22, s9, -v169
	v_fmac_f32_e32 v170, 0x3ee437d1, v23
	v_add_f32_e32 v71, v71, v196
	v_mov_b32_e32 v196, v67
	v_add_f32_e32 v44, v44, v45
	v_add_f32_e32 v45, v14, v170
	v_fmac_f32_e32 v171, 0xbf1a4643, v25
	v_fmac_f32_e32 v196, 0xbe8c1d8e, v20
	v_mul_f32_e32 v81, 0xbf4c4adb, v81
	v_add_f32_e32 v45, v45, v171
	v_fmac_f32_e32 v172, 0xbf7ba420, v26
	v_add_f32_e32 v71, v71, v196
	v_mov_b32_e32 v196, v81
	v_add_f32_e32 v45, v45, v172
	v_fmac_f32_e32 v173, 0xbe8c1d8e, v28
	v_fmac_f32_e32 v196, 0xbf1a4643, v21
	v_mul_f32_e32 v84, 0xbf06c442, v84
	v_add_f32_e32 v45, v45, v173
	v_fmac_f32_e32 v174, 0x3f3d2fb0, v29
	v_add_f32_e32 v71, v71, v196
	v_mov_b32_e32 v196, v84
	v_add_f32_e32 v45, v45, v174
	v_fmac_f32_e32 v175, 0x3f6eb680, v24
	v_fmac_f32_e32 v196, 0xbf59a7d5, v22
	v_add_f32_e32 v45, v45, v175
	v_fmac_f32_e32 v176, 0x3dbcf732, v27
	v_add_f32_e32 v71, v71, v196
	v_mul_f32_e32 v196, 0xbeb8f4ab, v72
	v_add_f32_e32 v46, v45, v176
	v_fma_f32 v45, v31, s4, -v177
	v_fmac_f32_e32 v178, 0xbf59a7d5, v30
	v_fma_f32 v72, v23, s1, -v196
	v_mul_f32_e32 v74, 0xbf2c7751, v74
	v_add_f32_e32 v45, v44, v45
	v_add_f32_e32 v44, v46, v178
	v_fma_f32 v46, v16, s5, -v179
	v_add_f32_e32 v72, v14, v72
	v_fma_f32 v197, v25, s5, -v74
	v_mul_f32_e32 v76, 0xbf65296c, v76
	v_add_f32_e32 v46, v15, v46
	v_fma_f32 v47, v17, s9, -v180
	v_fma_f32 v16, v16, s1, -v193
	v_add_f32_e32 v72, v72, v197
	v_fma_f32 v197, v26, s7, -v76
	v_mul_f32_e32 v87, 0xbf7ee86f, v87
	v_add_f32_e32 v46, v46, v47
	v_fma_f32 v47, v18, s6, -v181
	v_add_f32_e32 v15, v15, v16
	v_fma_f32 v16, v17, s5, -v80
	v_add_f32_e32 v72, v72, v197
	v_fma_f32 v197, v28, s9, -v87
	v_mul_f32_e32 v89, 0xbf763a35, v89
	v_add_f32_e32 v46, v46, v47
	v_fma_f32 v47, v19, s0, -v182
	v_add_f32_e32 v15, v15, v16
	;; [unrolled: 7-line block ×5, first 2 shown]
	v_fma_f32 v16, v21, s6, -v81
	v_add_f32_e32 v197, v72, v197
	v_mov_b32_e32 v72, v95
	v_add_f32_e32 v46, v46, v47
	v_fma_f32 v47, v31, s1, -v194
	v_fmac_f32_e32 v186, 0x3f3d2fb0, v23
	v_add_f32_e32 v15, v15, v16
	v_fma_f32 v16, v22, s4, -v84
	v_fmac_f32_e32 v196, 0x3f6eb680, v23
	v_fmac_f32_e32 v72, 0xbf7ba420, v31
	v_mul_f32_e32 v97, 0xbe3c28d5, v97
	v_add_f32_e32 v47, v46, v47
	v_add_f32_e32 v46, v14, v186
	;; [unrolled: 1-line block ×3, first 2 shown]
	v_fma_f32 v16, v31, s0, -v95
	v_add_f32_e32 v14, v14, v196
	v_fmac_f32_e32 v74, 0x3f3d2fb0, v25
	v_add_f32_e32 v72, v71, v72
	v_fma_f32 v71, v30, s0, -v97
	v_add_f32_e32 v15, v15, v16
	v_add_f32_e32 v14, v14, v74
	v_fmac_f32_e32 v76, 0x3ee437d1, v26
	v_mad_u64_u32 v[16:17], s[0:1], s2, v48, 0
	v_add_f32_e32 v14, v14, v76
	v_fmac_f32_e32 v87, 0x3dbcf732, v28
	v_add_f32_e32 v14, v14, v87
	v_fmac_f32_e32 v89, 0xbe8c1d8e, v29
	;; [unrolled: 2-line block ×3, first 2 shown]
	v_add_f32_e32 v19, v14, v91
	v_mov_b32_e32 v14, v17
	v_mad_u64_u32 v[17:18], s[0:1], s3, v48, v[14:15]
	v_mov_b32_e32 v18, s13
	v_add_co_u32_e32 v20, vcc, s12, v0
	v_addc_co_u32_e32 v21, vcc, v18, v1, vcc
	v_add_u32_e32 v18, 0x55, v48
	v_lshlrev_b64 v[0:1], 3, v[16:17]
	v_mad_u64_u32 v[16:17], s[0:1], s2, v18, 0
	v_fmac_f32_e32 v93, 0xbf59a7d5, v27
	v_add_u32_e32 v22, 0xaa, v48
	v_mad_u64_u32 v[17:18], s[0:1], s3, v18, v[17:18]
	v_add_f32_e32 v14, v19, v93
	v_mad_u64_u32 v[18:19], s[0:1], s2, v22, 0
	v_add_co_u32_e32 v0, vcc, v20, v0
	v_addc_co_u32_e32 v1, vcc, v21, v1, vcc
	global_store_dwordx2 v[0:1], v[32:33], off
	v_lshlrev_b64 v[0:1], 3, v[16:17]
	v_mov_b32_e32 v16, v19
	v_mad_u64_u32 v[16:17], s[0:1], s3, v22, v[16:17]
	v_add_co_u32_e32 v0, vcc, v20, v0
	v_add_f32_e32 v71, v197, v71
	v_addc_co_u32_e32 v1, vcc, v21, v1, vcc
	v_mov_b32_e32 v19, v16
	global_store_dwordx2 v[0:1], v[71:72], off
	v_lshlrev_b64 v[0:1], 3, v[18:19]
	v_add_u32_e32 v18, 0xff, v48
	v_mad_u64_u32 v[16:17], s[0:1], s2, v18, 0
	v_add_u32_e32 v22, 0x154, v48
	v_add_co_u32_e32 v0, vcc, v20, v0
	v_mad_u64_u32 v[17:18], s[0:1], s3, v18, v[17:18]
	v_mad_u64_u32 v[18:19], s[0:1], s2, v22, 0
	v_addc_co_u32_e32 v1, vcc, v21, v1, vcc
	global_store_dwordx2 v[0:1], v[69:70], off
	v_lshlrev_b64 v[0:1], 3, v[16:17]
	v_mov_b32_e32 v16, v19
	v_mad_u64_u32 v[16:17], s[0:1], s3, v22, v[16:17]
	v_add_co_u32_e32 v0, vcc, v20, v0
	v_addc_co_u32_e32 v1, vcc, v21, v1, vcc
	v_mov_b32_e32 v19, v16
	v_add_u32_e32 v16, 0x1a9, v48
	global_store_dwordx2 v[0:1], v[12:13], off
	v_mad_u64_u32 v[12:13], s[0:1], s2, v16, 0
	v_fmac_f32_e32 v97, 0xbf7ba420, v30
	v_add_f32_e32 v14, v14, v97
	v_lshlrev_b64 v[0:1], 3, v[18:19]
	v_mad_u64_u32 v[16:17], s[0:1], s3, v16, v[13:14]
	v_add_u32_e32 v19, 0x1fe, v48
	v_mad_u64_u32 v[17:18], s[0:1], s2, v19, 0
	v_add_co_u32_e32 v0, vcc, v20, v0
	v_addc_co_u32_e32 v1, vcc, v21, v1, vcc
	global_store_dwordx2 v[0:1], v[10:11], off
	v_mov_b32_e32 v10, v18
	v_mov_b32_e32 v13, v16
	v_mad_u64_u32 v[10:11], s[0:1], s3, v19, v[10:11]
	v_lshlrev_b64 v[0:1], 3, v[12:13]
	v_add_u32_e32 v12, 0x2a8, v48
	v_add_co_u32_e32 v0, vcc, v20, v0
	v_addc_co_u32_e32 v1, vcc, v21, v1, vcc
	v_mov_b32_e32 v18, v10
	v_add_u32_e32 v10, 0x253, v48
	global_store_dwordx2 v[0:1], v[8:9], off
	v_mad_u64_u32 v[8:9], s[0:1], s2, v10, 0
	v_lshlrev_b64 v[0:1], 3, v[17:18]
	v_fmac_f32_e32 v187, 0x3dbcf732, v25
	v_mad_u64_u32 v[9:10], s[0:1], s3, v10, v[9:10]
	v_mad_u64_u32 v[10:11], s[0:1], s2, v12, 0
	v_add_co_u32_e32 v0, vcc, v20, v0
	v_addc_co_u32_e32 v1, vcc, v21, v1, vcc
	global_store_dwordx2 v[0:1], v[6:7], off
	v_mov_b32_e32 v6, v11
	v_mad_u64_u32 v[6:7], s[0:1], s3, v12, v[6:7]
	v_lshlrev_b64 v[0:1], 3, v[8:9]
	v_add_u32_e32 v8, 0x352, v48
	v_add_co_u32_e32 v0, vcc, v20, v0
	v_addc_co_u32_e32 v1, vcc, v21, v1, vcc
	v_mov_b32_e32 v11, v6
	v_add_u32_e32 v6, 0x2fd, v48
	global_store_dwordx2 v[0:1], v[4:5], off
	v_mad_u64_u32 v[4:5], s[0:1], s2, v6, 0
	v_lshlrev_b64 v[0:1], 3, v[10:11]
	v_add_f32_e32 v46, v46, v187
	v_mad_u64_u32 v[5:6], s[0:1], s3, v6, v[5:6]
	v_mad_u64_u32 v[6:7], s[0:1], s2, v8, 0
	v_add_co_u32_e32 v0, vcc, v20, v0
	v_addc_co_u32_e32 v1, vcc, v21, v1, vcc
	global_store_dwordx2 v[0:1], v[2:3], off
	v_mov_b32_e32 v2, v7
	v_mad_u64_u32 v[2:3], s[0:1], s3, v8, v[2:3]
	v_lshlrev_b64 v[0:1], 3, v[4:5]
	v_add_u32_e32 v4, 0x3a7, v48
	v_mov_b32_e32 v7, v2
	v_mad_u64_u32 v[2:3], s[0:1], s2, v4, 0
	v_add_co_u32_e32 v0, vcc, v20, v0
	v_addc_co_u32_e32 v1, vcc, v21, v1, vcc
	global_store_dwordx2 v[0:1], v[34:35], off
	v_lshlrev_b64 v[0:1], 3, v[6:7]
	v_mad_u64_u32 v[3:4], s[0:1], s3, v4, v[3:4]
	v_add_u32_e32 v6, 0x3fc, v48
	v_mad_u64_u32 v[4:5], s[0:1], s2, v6, 0
	v_add_co_u32_e32 v0, vcc, v20, v0
	v_addc_co_u32_e32 v1, vcc, v21, v1, vcc
	global_store_dwordx2 v[0:1], v[36:37], off
	v_lshlrev_b64 v[0:1], 3, v[2:3]
	v_mov_b32_e32 v2, v5
	v_mad_u64_u32 v[2:3], s[0:1], s3, v6, v[2:3]
	v_add_co_u32_e32 v0, vcc, v20, v0
	v_addc_co_u32_e32 v1, vcc, v21, v1, vcc
	v_mov_b32_e32 v5, v2
	global_store_dwordx2 v[0:1], v[38:39], off
	v_lshlrev_b64 v[0:1], 3, v[4:5]
	v_add_u32_e32 v4, 0x451, v48
	v_mad_u64_u32 v[2:3], s[0:1], s2, v4, 0
	v_add_u32_e32 v6, 0x4a6, v48
	v_add_co_u32_e32 v0, vcc, v20, v0
	v_mad_u64_u32 v[3:4], s[0:1], s3, v4, v[3:4]
	v_mad_u64_u32 v[4:5], s[0:1], s2, v6, 0
	v_addc_co_u32_e32 v1, vcc, v21, v1, vcc
	global_store_dwordx2 v[0:1], v[40:41], off
	v_lshlrev_b64 v[0:1], 3, v[2:3]
	v_mov_b32_e32 v2, v5
	v_mad_u64_u32 v[2:3], s[0:1], s3, v6, v[2:3]
	v_add_co_u32_e32 v0, vcc, v20, v0
	v_addc_co_u32_e32 v1, vcc, v21, v1, vcc
	v_mov_b32_e32 v5, v2
	global_store_dwordx2 v[0:1], v[42:43], off
	v_lshlrev_b64 v[0:1], 3, v[4:5]
	v_add_u32_e32 v4, 0x4fb, v48
	v_mad_u64_u32 v[2:3], s[0:1], s2, v4, 0
	v_add_u32_e32 v6, 0x550, v48
	v_add_co_u32_e32 v0, vcc, v20, v0
	v_mad_u64_u32 v[3:4], s[0:1], s3, v4, v[3:4]
	v_mad_u64_u32 v[4:5], s[0:1], s2, v6, 0
	v_fmac_f32_e32 v188, 0xbf1a4643, v26
	v_addc_co_u32_e32 v1, vcc, v21, v1, vcc
	v_add_f32_e32 v46, v46, v188
	v_fmac_f32_e32 v189, 0xbf7ba420, v28
	global_store_dwordx2 v[0:1], v[44:45], off
	v_lshlrev_b64 v[0:1], 3, v[2:3]
	v_mov_b32_e32 v2, v5
	v_add_f32_e32 v46, v46, v189
	v_fmac_f32_e32 v190, 0xbf59a7d5, v29
	v_mad_u64_u32 v[2:3], s[0:1], s3, v6, v[2:3]
	v_add_f32_e32 v46, v46, v190
	v_fmac_f32_e32 v191, 0xbe8c1d8e, v24
	v_add_f32_e32 v46, v46, v191
	v_fmac_f32_e32 v192, 0x3ee437d1, v27
	;; [unrolled: 2-line block ×3, first 2 shown]
	v_add_co_u32_e32 v0, vcc, v20, v0
	v_add_f32_e32 v46, v46, v195
	v_addc_co_u32_e32 v1, vcc, v21, v1, vcc
	v_mov_b32_e32 v5, v2
	global_store_dwordx2 v[0:1], v[46:47], off
	v_lshlrev_b64 v[0:1], 3, v[4:5]
	v_add_co_u32_e32 v0, vcc, v20, v0
	v_addc_co_u32_e32 v1, vcc, v21, v1, vcc
	global_store_dwordx2 v[0:1], v[14:15], off
.LBB0_23:
	s_endpgm
	.section	.rodata,"a",@progbits
	.p2align	6, 0x0
	.amdhsa_kernel fft_rtc_fwd_len1445_factors_17_5_17_wgs_85_tpt_85_halfLds_sp_ip_CI_sbrr_dirReg
		.amdhsa_group_segment_fixed_size 0
		.amdhsa_private_segment_fixed_size 0
		.amdhsa_kernarg_size 88
		.amdhsa_user_sgpr_count 6
		.amdhsa_user_sgpr_private_segment_buffer 1
		.amdhsa_user_sgpr_dispatch_ptr 0
		.amdhsa_user_sgpr_queue_ptr 0
		.amdhsa_user_sgpr_kernarg_segment_ptr 1
		.amdhsa_user_sgpr_dispatch_id 0
		.amdhsa_user_sgpr_flat_scratch_init 0
		.amdhsa_user_sgpr_private_segment_size 0
		.amdhsa_uses_dynamic_stack 0
		.amdhsa_system_sgpr_private_segment_wavefront_offset 0
		.amdhsa_system_sgpr_workgroup_id_x 1
		.amdhsa_system_sgpr_workgroup_id_y 0
		.amdhsa_system_sgpr_workgroup_id_z 0
		.amdhsa_system_sgpr_workgroup_info 0
		.amdhsa_system_vgpr_workitem_id 0
		.amdhsa_next_free_vgpr 198
		.amdhsa_next_free_sgpr 24
		.amdhsa_reserve_vcc 1
		.amdhsa_reserve_flat_scratch 0
		.amdhsa_float_round_mode_32 0
		.amdhsa_float_round_mode_16_64 0
		.amdhsa_float_denorm_mode_32 3
		.amdhsa_float_denorm_mode_16_64 3
		.amdhsa_dx10_clamp 1
		.amdhsa_ieee_mode 1
		.amdhsa_fp16_overflow 0
		.amdhsa_exception_fp_ieee_invalid_op 0
		.amdhsa_exception_fp_denorm_src 0
		.amdhsa_exception_fp_ieee_div_zero 0
		.amdhsa_exception_fp_ieee_overflow 0
		.amdhsa_exception_fp_ieee_underflow 0
		.amdhsa_exception_fp_ieee_inexact 0
		.amdhsa_exception_int_div_zero 0
	.end_amdhsa_kernel
	.text
.Lfunc_end0:
	.size	fft_rtc_fwd_len1445_factors_17_5_17_wgs_85_tpt_85_halfLds_sp_ip_CI_sbrr_dirReg, .Lfunc_end0-fft_rtc_fwd_len1445_factors_17_5_17_wgs_85_tpt_85_halfLds_sp_ip_CI_sbrr_dirReg
                                        ; -- End function
	.section	.AMDGPU.csdata,"",@progbits
; Kernel info:
; codeLenInByte = 16324
; NumSgprs: 28
; NumVgprs: 198
; ScratchSize: 0
; MemoryBound: 0
; FloatMode: 240
; IeeeMode: 1
; LDSByteSize: 0 bytes/workgroup (compile time only)
; SGPRBlocks: 3
; VGPRBlocks: 49
; NumSGPRsForWavesPerEU: 28
; NumVGPRsForWavesPerEU: 198
; Occupancy: 1
; WaveLimiterHint : 1
; COMPUTE_PGM_RSRC2:SCRATCH_EN: 0
; COMPUTE_PGM_RSRC2:USER_SGPR: 6
; COMPUTE_PGM_RSRC2:TRAP_HANDLER: 0
; COMPUTE_PGM_RSRC2:TGID_X_EN: 1
; COMPUTE_PGM_RSRC2:TGID_Y_EN: 0
; COMPUTE_PGM_RSRC2:TGID_Z_EN: 0
; COMPUTE_PGM_RSRC2:TIDIG_COMP_CNT: 0
	.type	__hip_cuid_b8fda8a74374ed28,@object ; @__hip_cuid_b8fda8a74374ed28
	.section	.bss,"aw",@nobits
	.globl	__hip_cuid_b8fda8a74374ed28
__hip_cuid_b8fda8a74374ed28:
	.byte	0                               ; 0x0
	.size	__hip_cuid_b8fda8a74374ed28, 1

	.ident	"AMD clang version 19.0.0git (https://github.com/RadeonOpenCompute/llvm-project roc-6.4.0 25133 c7fe45cf4b819c5991fe208aaa96edf142730f1d)"
	.section	".note.GNU-stack","",@progbits
	.addrsig
	.addrsig_sym __hip_cuid_b8fda8a74374ed28
	.amdgpu_metadata
---
amdhsa.kernels:
  - .args:
      - .actual_access:  read_only
        .address_space:  global
        .offset:         0
        .size:           8
        .value_kind:     global_buffer
      - .offset:         8
        .size:           8
        .value_kind:     by_value
      - .actual_access:  read_only
        .address_space:  global
        .offset:         16
        .size:           8
        .value_kind:     global_buffer
      - .actual_access:  read_only
        .address_space:  global
        .offset:         24
        .size:           8
        .value_kind:     global_buffer
      - .offset:         32
        .size:           8
        .value_kind:     by_value
      - .actual_access:  read_only
        .address_space:  global
        .offset:         40
        .size:           8
        .value_kind:     global_buffer
      - .actual_access:  read_only
        .address_space:  global
        .offset:         48
        .size:           8
        .value_kind:     global_buffer
      - .offset:         56
        .size:           4
        .value_kind:     by_value
      - .actual_access:  read_only
        .address_space:  global
        .offset:         64
        .size:           8
        .value_kind:     global_buffer
      - .actual_access:  read_only
        .address_space:  global
        .offset:         72
        .size:           8
        .value_kind:     global_buffer
      - .address_space:  global
        .offset:         80
        .size:           8
        .value_kind:     global_buffer
    .group_segment_fixed_size: 0
    .kernarg_segment_align: 8
    .kernarg_segment_size: 88
    .language:       OpenCL C
    .language_version:
      - 2
      - 0
    .max_flat_workgroup_size: 85
    .name:           fft_rtc_fwd_len1445_factors_17_5_17_wgs_85_tpt_85_halfLds_sp_ip_CI_sbrr_dirReg
    .private_segment_fixed_size: 0
    .sgpr_count:     28
    .sgpr_spill_count: 0
    .symbol:         fft_rtc_fwd_len1445_factors_17_5_17_wgs_85_tpt_85_halfLds_sp_ip_CI_sbrr_dirReg.kd
    .uniform_work_group_size: 1
    .uses_dynamic_stack: false
    .vgpr_count:     198
    .vgpr_spill_count: 0
    .wavefront_size: 64
amdhsa.target:   amdgcn-amd-amdhsa--gfx906
amdhsa.version:
  - 1
  - 2
...

	.end_amdgpu_metadata
